;; amdgpu-corpus repo=ROCm/rocSOLVER kind=compiled arch=gfx950 opt=O3
	.amdgcn_target "amdgcn-amd-amdhsa--gfx950"
	.amdhsa_code_object_version 6
	.section	.text._ZN9rocsolver6v33100L10reset_infoIiiiEEvPT_T0_T1_S4_,"axG",@progbits,_ZN9rocsolver6v33100L10reset_infoIiiiEEvPT_T0_T1_S4_,comdat
	.globl	_ZN9rocsolver6v33100L10reset_infoIiiiEEvPT_T0_T1_S4_ ; -- Begin function _ZN9rocsolver6v33100L10reset_infoIiiiEEvPT_T0_T1_S4_
	.p2align	8
	.type	_ZN9rocsolver6v33100L10reset_infoIiiiEEvPT_T0_T1_S4_,@function
_ZN9rocsolver6v33100L10reset_infoIiiiEEvPT_T0_T1_S4_: ; @_ZN9rocsolver6v33100L10reset_infoIiiiEEvPT_T0_T1_S4_
; %bb.0:
	s_load_dword s3, s[0:1], 0x24
	s_load_dwordx4 s[4:7], s[0:1], 0x8
	s_waitcnt lgkmcnt(0)
	s_and_b32 s3, s3, 0xffff
	s_mul_i32 s2, s2, s3
	v_add_u32_e32 v0, s2, v0
	v_cmp_gt_i32_e32 vcc, s4, v0
	s_and_saveexec_b64 s[2:3], vcc
	s_cbranch_execz .LBB0_2
; %bb.1:
	s_load_dwordx2 s[0:1], s[0:1], 0x0
	v_ashrrev_i32_e32 v1, 31, v0
	v_mul_lo_u32 v2, v0, s6
	v_add_u32_e32 v2, s5, v2
	s_waitcnt lgkmcnt(0)
	v_lshl_add_u64 v[0:1], v[0:1], 2, s[0:1]
	global_store_dword v[0:1], v2, off
.LBB0_2:
	s_endpgm
	.section	.rodata,"a",@progbits
	.p2align	6, 0x0
	.amdhsa_kernel _ZN9rocsolver6v33100L10reset_infoIiiiEEvPT_T0_T1_S4_
		.amdhsa_group_segment_fixed_size 0
		.amdhsa_private_segment_fixed_size 0
		.amdhsa_kernarg_size 280
		.amdhsa_user_sgpr_count 2
		.amdhsa_user_sgpr_dispatch_ptr 0
		.amdhsa_user_sgpr_queue_ptr 0
		.amdhsa_user_sgpr_kernarg_segment_ptr 1
		.amdhsa_user_sgpr_dispatch_id 0
		.amdhsa_user_sgpr_kernarg_preload_length 0
		.amdhsa_user_sgpr_kernarg_preload_offset 0
		.amdhsa_user_sgpr_private_segment_size 0
		.amdhsa_uses_dynamic_stack 0
		.amdhsa_enable_private_segment 0
		.amdhsa_system_sgpr_workgroup_id_x 1
		.amdhsa_system_sgpr_workgroup_id_y 0
		.amdhsa_system_sgpr_workgroup_id_z 0
		.amdhsa_system_sgpr_workgroup_info 0
		.amdhsa_system_vgpr_workitem_id 0
		.amdhsa_next_free_vgpr 3
		.amdhsa_next_free_sgpr 8
		.amdhsa_accum_offset 4
		.amdhsa_reserve_vcc 1
		.amdhsa_float_round_mode_32 0
		.amdhsa_float_round_mode_16_64 0
		.amdhsa_float_denorm_mode_32 3
		.amdhsa_float_denorm_mode_16_64 3
		.amdhsa_dx10_clamp 1
		.amdhsa_ieee_mode 1
		.amdhsa_fp16_overflow 0
		.amdhsa_tg_split 0
		.amdhsa_exception_fp_ieee_invalid_op 0
		.amdhsa_exception_fp_denorm_src 0
		.amdhsa_exception_fp_ieee_div_zero 0
		.amdhsa_exception_fp_ieee_overflow 0
		.amdhsa_exception_fp_ieee_underflow 0
		.amdhsa_exception_fp_ieee_inexact 0
		.amdhsa_exception_int_div_zero 0
	.end_amdhsa_kernel
	.section	.text._ZN9rocsolver6v33100L10reset_infoIiiiEEvPT_T0_T1_S4_,"axG",@progbits,_ZN9rocsolver6v33100L10reset_infoIiiiEEvPT_T0_T1_S4_,comdat
.Lfunc_end0:
	.size	_ZN9rocsolver6v33100L10reset_infoIiiiEEvPT_T0_T1_S4_, .Lfunc_end0-_ZN9rocsolver6v33100L10reset_infoIiiiEEvPT_T0_T1_S4_
                                        ; -- End function
	.set _ZN9rocsolver6v33100L10reset_infoIiiiEEvPT_T0_T1_S4_.num_vgpr, 3
	.set _ZN9rocsolver6v33100L10reset_infoIiiiEEvPT_T0_T1_S4_.num_agpr, 0
	.set _ZN9rocsolver6v33100L10reset_infoIiiiEEvPT_T0_T1_S4_.numbered_sgpr, 8
	.set _ZN9rocsolver6v33100L10reset_infoIiiiEEvPT_T0_T1_S4_.num_named_barrier, 0
	.set _ZN9rocsolver6v33100L10reset_infoIiiiEEvPT_T0_T1_S4_.private_seg_size, 0
	.set _ZN9rocsolver6v33100L10reset_infoIiiiEEvPT_T0_T1_S4_.uses_vcc, 1
	.set _ZN9rocsolver6v33100L10reset_infoIiiiEEvPT_T0_T1_S4_.uses_flat_scratch, 0
	.set _ZN9rocsolver6v33100L10reset_infoIiiiEEvPT_T0_T1_S4_.has_dyn_sized_stack, 0
	.set _ZN9rocsolver6v33100L10reset_infoIiiiEEvPT_T0_T1_S4_.has_recursion, 0
	.set _ZN9rocsolver6v33100L10reset_infoIiiiEEvPT_T0_T1_S4_.has_indirect_call, 0
	.section	.AMDGPU.csdata,"",@progbits
; Kernel info:
; codeLenInByte = 96
; TotalNumSgprs: 14
; NumVgprs: 3
; NumAgprs: 0
; TotalNumVgprs: 3
; ScratchSize: 0
; MemoryBound: 0
; FloatMode: 240
; IeeeMode: 1
; LDSByteSize: 0 bytes/workgroup (compile time only)
; SGPRBlocks: 1
; VGPRBlocks: 0
; NumSGPRsForWavesPerEU: 14
; NumVGPRsForWavesPerEU: 3
; AccumOffset: 4
; Occupancy: 8
; WaveLimiterHint : 0
; COMPUTE_PGM_RSRC2:SCRATCH_EN: 0
; COMPUTE_PGM_RSRC2:USER_SGPR: 2
; COMPUTE_PGM_RSRC2:TRAP_HANDLER: 0
; COMPUTE_PGM_RSRC2:TGID_X_EN: 1
; COMPUTE_PGM_RSRC2:TGID_Y_EN: 0
; COMPUTE_PGM_RSRC2:TGID_Z_EN: 0
; COMPUTE_PGM_RSRC2:TIDIG_COMP_CNT: 0
; COMPUTE_PGM_RSRC3_GFX90A:ACCUM_OFFSET: 0
; COMPUTE_PGM_RSRC3_GFX90A:TG_SPLIT: 0
	.section	.text._ZN9rocsolver6v33100L16reset_batch_infoIfiiPfEEvT2_lT0_T1_,"axG",@progbits,_ZN9rocsolver6v33100L16reset_batch_infoIfiiPfEEvT2_lT0_T1_,comdat
	.globl	_ZN9rocsolver6v33100L16reset_batch_infoIfiiPfEEvT2_lT0_T1_ ; -- Begin function _ZN9rocsolver6v33100L16reset_batch_infoIfiiPfEEvT2_lT0_T1_
	.p2align	8
	.type	_ZN9rocsolver6v33100L16reset_batch_infoIfiiPfEEvT2_lT0_T1_,@function
_ZN9rocsolver6v33100L16reset_batch_infoIfiiPfEEvT2_lT0_T1_: ; @_ZN9rocsolver6v33100L16reset_batch_infoIfiiPfEEvT2_lT0_T1_
; %bb.0:
	s_load_dword s6, s[0:1], 0x24
	s_load_dwordx2 s[4:5], s[0:1], 0x10
	s_waitcnt lgkmcnt(0)
	s_and_b32 s6, s6, 0xffff
	s_mul_i32 s2, s2, s6
	v_add_u32_e32 v0, s2, v0
	v_cmp_gt_i32_e32 vcc, s4, v0
	s_and_saveexec_b64 s[6:7], vcc
	s_cbranch_execz .LBB1_2
; %bb.1:
	s_load_dwordx4 s[8:11], s[0:1], 0x0
	s_ashr_i32 s0, s3, 31
	v_cvt_f32_i32_e32 v2, s5
	v_ashrrev_i32_e32 v1, 31, v0
	s_waitcnt lgkmcnt(0)
	s_mul_hi_u32 s1, s10, s3
	s_mul_i32 s2, s10, s0
	s_mul_i32 s4, s11, s3
	s_add_i32 s1, s1, s2
	s_mul_i32 s0, s10, s3
	s_add_i32 s1, s1, s4
	s_lshl_b64 s[0:1], s[0:1], 2
	s_add_u32 s0, s8, s0
	s_addc_u32 s1, s9, s1
	v_lshl_add_u64 v[0:1], v[0:1], 2, s[0:1]
	global_store_dword v[0:1], v2, off
.LBB1_2:
	s_endpgm
	.section	.rodata,"a",@progbits
	.p2align	6, 0x0
	.amdhsa_kernel _ZN9rocsolver6v33100L16reset_batch_infoIfiiPfEEvT2_lT0_T1_
		.amdhsa_group_segment_fixed_size 0
		.amdhsa_private_segment_fixed_size 0
		.amdhsa_kernarg_size 280
		.amdhsa_user_sgpr_count 2
		.amdhsa_user_sgpr_dispatch_ptr 0
		.amdhsa_user_sgpr_queue_ptr 0
		.amdhsa_user_sgpr_kernarg_segment_ptr 1
		.amdhsa_user_sgpr_dispatch_id 0
		.amdhsa_user_sgpr_kernarg_preload_length 0
		.amdhsa_user_sgpr_kernarg_preload_offset 0
		.amdhsa_user_sgpr_private_segment_size 0
		.amdhsa_uses_dynamic_stack 0
		.amdhsa_enable_private_segment 0
		.amdhsa_system_sgpr_workgroup_id_x 1
		.amdhsa_system_sgpr_workgroup_id_y 1
		.amdhsa_system_sgpr_workgroup_id_z 0
		.amdhsa_system_sgpr_workgroup_info 0
		.amdhsa_system_vgpr_workitem_id 0
		.amdhsa_next_free_vgpr 3
		.amdhsa_next_free_sgpr 12
		.amdhsa_accum_offset 4
		.amdhsa_reserve_vcc 1
		.amdhsa_float_round_mode_32 0
		.amdhsa_float_round_mode_16_64 0
		.amdhsa_float_denorm_mode_32 3
		.amdhsa_float_denorm_mode_16_64 3
		.amdhsa_dx10_clamp 1
		.amdhsa_ieee_mode 1
		.amdhsa_fp16_overflow 0
		.amdhsa_tg_split 0
		.amdhsa_exception_fp_ieee_invalid_op 0
		.amdhsa_exception_fp_denorm_src 0
		.amdhsa_exception_fp_ieee_div_zero 0
		.amdhsa_exception_fp_ieee_overflow 0
		.amdhsa_exception_fp_ieee_underflow 0
		.amdhsa_exception_fp_ieee_inexact 0
		.amdhsa_exception_int_div_zero 0
	.end_amdhsa_kernel
	.section	.text._ZN9rocsolver6v33100L16reset_batch_infoIfiiPfEEvT2_lT0_T1_,"axG",@progbits,_ZN9rocsolver6v33100L16reset_batch_infoIfiiPfEEvT2_lT0_T1_,comdat
.Lfunc_end1:
	.size	_ZN9rocsolver6v33100L16reset_batch_infoIfiiPfEEvT2_lT0_T1_, .Lfunc_end1-_ZN9rocsolver6v33100L16reset_batch_infoIfiiPfEEvT2_lT0_T1_
                                        ; -- End function
	.set _ZN9rocsolver6v33100L16reset_batch_infoIfiiPfEEvT2_lT0_T1_.num_vgpr, 3
	.set _ZN9rocsolver6v33100L16reset_batch_infoIfiiPfEEvT2_lT0_T1_.num_agpr, 0
	.set _ZN9rocsolver6v33100L16reset_batch_infoIfiiPfEEvT2_lT0_T1_.numbered_sgpr, 12
	.set _ZN9rocsolver6v33100L16reset_batch_infoIfiiPfEEvT2_lT0_T1_.num_named_barrier, 0
	.set _ZN9rocsolver6v33100L16reset_batch_infoIfiiPfEEvT2_lT0_T1_.private_seg_size, 0
	.set _ZN9rocsolver6v33100L16reset_batch_infoIfiiPfEEvT2_lT0_T1_.uses_vcc, 1
	.set _ZN9rocsolver6v33100L16reset_batch_infoIfiiPfEEvT2_lT0_T1_.uses_flat_scratch, 0
	.set _ZN9rocsolver6v33100L16reset_batch_infoIfiiPfEEvT2_lT0_T1_.has_dyn_sized_stack, 0
	.set _ZN9rocsolver6v33100L16reset_batch_infoIfiiPfEEvT2_lT0_T1_.has_recursion, 0
	.set _ZN9rocsolver6v33100L16reset_batch_infoIfiiPfEEvT2_lT0_T1_.has_indirect_call, 0
	.section	.AMDGPU.csdata,"",@progbits
; Kernel info:
; codeLenInByte = 128
; TotalNumSgprs: 18
; NumVgprs: 3
; NumAgprs: 0
; TotalNumVgprs: 3
; ScratchSize: 0
; MemoryBound: 0
; FloatMode: 240
; IeeeMode: 1
; LDSByteSize: 0 bytes/workgroup (compile time only)
; SGPRBlocks: 2
; VGPRBlocks: 0
; NumSGPRsForWavesPerEU: 18
; NumVGPRsForWavesPerEU: 3
; AccumOffset: 4
; Occupancy: 8
; WaveLimiterHint : 0
; COMPUTE_PGM_RSRC2:SCRATCH_EN: 0
; COMPUTE_PGM_RSRC2:USER_SGPR: 2
; COMPUTE_PGM_RSRC2:TRAP_HANDLER: 0
; COMPUTE_PGM_RSRC2:TGID_X_EN: 1
; COMPUTE_PGM_RSRC2:TGID_Y_EN: 1
; COMPUTE_PGM_RSRC2:TGID_Z_EN: 0
; COMPUTE_PGM_RSRC2:TIDIG_COMP_CNT: 0
; COMPUTE_PGM_RSRC3_GFX90A:ACCUM_OFFSET: 0
; COMPUTE_PGM_RSRC3_GFX90A:TG_SPLIT: 0
	.section	.text._ZN9rocsolver6v33100L10init_identIfPfEEviiT0_iil,"axG",@progbits,_ZN9rocsolver6v33100L10init_identIfPfEEviiT0_iil,comdat
	.globl	_ZN9rocsolver6v33100L10init_identIfPfEEviiT0_iil ; -- Begin function _ZN9rocsolver6v33100L10init_identIfPfEEviiT0_iil
	.p2align	8
	.type	_ZN9rocsolver6v33100L10init_identIfPfEEviiT0_iil,@function
_ZN9rocsolver6v33100L10init_identIfPfEEviiT0_iil: ; @_ZN9rocsolver6v33100L10init_identIfPfEEviiT0_iil
; %bb.0:
	s_load_dword s5, s[0:1], 0x2c
	s_load_dwordx2 s[6:7], s[0:1], 0x0
	v_and_b32_e32 v1, 0x3ff, v0
	v_bfe_u32 v0, v0, 10, 10
	s_waitcnt lgkmcnt(0)
	s_lshr_b32 s8, s5, 16
	s_and_b32 s5, s5, 0xffff
	s_mul_i32 s2, s2, s5
	s_mul_i32 s3, s3, s8
	v_add_u32_e32 v2, s2, v1
	v_add_u32_e32 v1, s3, v0
	v_cmp_gt_u32_e32 vcc, s6, v2
	v_cmp_gt_u32_e64 s[2:3], s7, v1
	s_and_b64 s[2:3], vcc, s[2:3]
	s_and_saveexec_b64 s[6:7], s[2:3]
	s_cbranch_execz .LBB2_6
; %bb.1:
	s_load_dwordx2 s[2:3], s[0:1], 0x10
	v_cmp_ne_u32_e32 vcc, v2, v1
                                        ; implicit-def: $vgpr0
	s_and_saveexec_b64 s[6:7], vcc
	s_xor_b64 s[6:7], exec, s[6:7]
	s_cbranch_execz .LBB2_3
; %bb.2:
	s_waitcnt lgkmcnt(0)
	v_mad_u64_u32 v[0:1], s[8:9], v1, s3, v[2:3]
                                        ; implicit-def: $vgpr2
.LBB2_3:
	s_or_saveexec_b64 s[6:7], s[6:7]
	v_mov_b32_e32 v1, 0
	v_mov_b32_e32 v3, 0
	s_xor_b64 exec, exec, s[6:7]
	s_cbranch_execz .LBB2_5
; %bb.4:
	s_waitcnt lgkmcnt(0)
	v_mad_u64_u32 v[2:3], s[8:9], v2, s3, v[2:3]
	v_mov_b32_e32 v3, 1.0
	v_mov_b32_e32 v0, v2
.LBB2_5:
	s_or_b64 exec, exec, s[6:7]
	s_load_dwordx2 s[6:7], s[0:1], 0x18
	s_load_dwordx2 s[8:9], s[0:1], 0x8
	s_waitcnt lgkmcnt(0)
	s_ashr_i32 s3, s2, 31
	s_mul_i32 s1, s7, s4
	s_mul_hi_u32 s5, s6, s4
	s_mul_i32 s0, s6, s4
	s_add_i32 s1, s5, s1
	s_lshl_b64 s[0:1], s[0:1], 2
	s_add_u32 s4, s8, s0
	s_addc_u32 s5, s9, s1
	s_lshl_b64 s[0:1], s[2:3], 2
	s_add_u32 s0, s4, s0
	s_addc_u32 s1, s5, s1
	v_lshl_add_u64 v[0:1], v[0:1], 2, s[0:1]
	global_store_dword v[0:1], v3, off
.LBB2_6:
	s_endpgm
	.section	.rodata,"a",@progbits
	.p2align	6, 0x0
	.amdhsa_kernel _ZN9rocsolver6v33100L10init_identIfPfEEviiT0_iil
		.amdhsa_group_segment_fixed_size 0
		.amdhsa_private_segment_fixed_size 0
		.amdhsa_kernarg_size 288
		.amdhsa_user_sgpr_count 2
		.amdhsa_user_sgpr_dispatch_ptr 0
		.amdhsa_user_sgpr_queue_ptr 0
		.amdhsa_user_sgpr_kernarg_segment_ptr 1
		.amdhsa_user_sgpr_dispatch_id 0
		.amdhsa_user_sgpr_kernarg_preload_length 0
		.amdhsa_user_sgpr_kernarg_preload_offset 0
		.amdhsa_user_sgpr_private_segment_size 0
		.amdhsa_uses_dynamic_stack 0
		.amdhsa_enable_private_segment 0
		.amdhsa_system_sgpr_workgroup_id_x 1
		.amdhsa_system_sgpr_workgroup_id_y 1
		.amdhsa_system_sgpr_workgroup_id_z 1
		.amdhsa_system_sgpr_workgroup_info 0
		.amdhsa_system_vgpr_workitem_id 1
		.amdhsa_next_free_vgpr 4
		.amdhsa_next_free_sgpr 10
		.amdhsa_accum_offset 4
		.amdhsa_reserve_vcc 1
		.amdhsa_float_round_mode_32 0
		.amdhsa_float_round_mode_16_64 0
		.amdhsa_float_denorm_mode_32 3
		.amdhsa_float_denorm_mode_16_64 3
		.amdhsa_dx10_clamp 1
		.amdhsa_ieee_mode 1
		.amdhsa_fp16_overflow 0
		.amdhsa_tg_split 0
		.amdhsa_exception_fp_ieee_invalid_op 0
		.amdhsa_exception_fp_denorm_src 0
		.amdhsa_exception_fp_ieee_div_zero 0
		.amdhsa_exception_fp_ieee_overflow 0
		.amdhsa_exception_fp_ieee_underflow 0
		.amdhsa_exception_fp_ieee_inexact 0
		.amdhsa_exception_int_div_zero 0
	.end_amdhsa_kernel
	.section	.text._ZN9rocsolver6v33100L10init_identIfPfEEviiT0_iil,"axG",@progbits,_ZN9rocsolver6v33100L10init_identIfPfEEviiT0_iil,comdat
.Lfunc_end2:
	.size	_ZN9rocsolver6v33100L10init_identIfPfEEviiT0_iil, .Lfunc_end2-_ZN9rocsolver6v33100L10init_identIfPfEEviiT0_iil
                                        ; -- End function
	.set _ZN9rocsolver6v33100L10init_identIfPfEEviiT0_iil.num_vgpr, 4
	.set _ZN9rocsolver6v33100L10init_identIfPfEEviiT0_iil.num_agpr, 0
	.set _ZN9rocsolver6v33100L10init_identIfPfEEviiT0_iil.numbered_sgpr, 10
	.set _ZN9rocsolver6v33100L10init_identIfPfEEviiT0_iil.num_named_barrier, 0
	.set _ZN9rocsolver6v33100L10init_identIfPfEEviiT0_iil.private_seg_size, 0
	.set _ZN9rocsolver6v33100L10init_identIfPfEEviiT0_iil.uses_vcc, 1
	.set _ZN9rocsolver6v33100L10init_identIfPfEEviiT0_iil.uses_flat_scratch, 0
	.set _ZN9rocsolver6v33100L10init_identIfPfEEviiT0_iil.has_dyn_sized_stack, 0
	.set _ZN9rocsolver6v33100L10init_identIfPfEEviiT0_iil.has_recursion, 0
	.set _ZN9rocsolver6v33100L10init_identIfPfEEviiT0_iil.has_indirect_call, 0
	.section	.AMDGPU.csdata,"",@progbits
; Kernel info:
; codeLenInByte = 252
; TotalNumSgprs: 16
; NumVgprs: 4
; NumAgprs: 0
; TotalNumVgprs: 4
; ScratchSize: 0
; MemoryBound: 0
; FloatMode: 240
; IeeeMode: 1
; LDSByteSize: 0 bytes/workgroup (compile time only)
; SGPRBlocks: 1
; VGPRBlocks: 0
; NumSGPRsForWavesPerEU: 16
; NumVGPRsForWavesPerEU: 4
; AccumOffset: 4
; Occupancy: 8
; WaveLimiterHint : 0
; COMPUTE_PGM_RSRC2:SCRATCH_EN: 0
; COMPUTE_PGM_RSRC2:USER_SGPR: 2
; COMPUTE_PGM_RSRC2:TRAP_HANDLER: 0
; COMPUTE_PGM_RSRC2:TGID_X_EN: 1
; COMPUTE_PGM_RSRC2:TGID_Y_EN: 1
; COMPUTE_PGM_RSRC2:TGID_Z_EN: 1
; COMPUTE_PGM_RSRC2:TIDIG_COMP_CNT: 1
; COMPUTE_PGM_RSRC3_GFX90A:ACCUM_OFFSET: 0
; COMPUTE_PGM_RSRC3_GFX90A:TG_SPLIT: 0
	.section	.text._ZN9rocsolver6v33100L12sterf_kernelIfEEviPT_lS3_lPiS4_iS2_S2_S2_,"axG",@progbits,_ZN9rocsolver6v33100L12sterf_kernelIfEEviPT_lS3_lPiS4_iS2_S2_S2_,comdat
	.globl	_ZN9rocsolver6v33100L12sterf_kernelIfEEviPT_lS3_lPiS4_iS2_S2_S2_ ; -- Begin function _ZN9rocsolver6v33100L12sterf_kernelIfEEviPT_lS3_lPiS4_iS2_S2_S2_
	.p2align	8
	.type	_ZN9rocsolver6v33100L12sterf_kernelIfEEviPT_lS3_lPiS4_iS2_S2_S2_,@function
_ZN9rocsolver6v33100L12sterf_kernelIfEEviPT_lS3_lPiS4_iS2_S2_S2_: ; @_ZN9rocsolver6v33100L12sterf_kernelIfEEviPT_lS3_lPiS4_iS2_S2_S2_
; %bb.0:
	s_load_dwordx8 s[12:19], s[0:1], 0x8
	s_load_dword s33, s[0:1], 0x0
	s_load_dwordx4 s[20:23], s[0:1], 0x38
	s_ashr_i32 s3, s2, 31
	s_waitcnt lgkmcnt(0)
	s_mul_hi_u32 s4, s14, s2
	s_mul_i32 s5, s14, s3
	s_add_i32 s4, s4, s5
	s_mul_i32 s5, s15, s2
	s_add_i32 s5, s4, s5
	s_mul_i32 s4, s14, s2
	s_lshl_b64 s[10:11], s[4:5], 2
	s_add_u32 s56, s12, s10
	s_mul_hi_u32 s4, s18, s2
	s_mul_i32 s5, s18, s3
	s_addc_u32 s57, s13, s11
	s_add_i32 s4, s4, s5
	s_mul_i32 s5, s19, s2
	s_add_i32 s5, s4, s5
	s_mul_i32 s4, s18, s2
	s_lshl_b64 s[4:5], s[4:5], 2
	s_add_u32 s14, s16, s4
	s_addc_u32 s15, s17, s5
	s_min_i32 s6, s33, s20
	s_cmp_lt_i32 s6, 1
	s_cbranch_scc1 .LBB3_162
; %bb.1:
	s_add_i32 s58, s33, -1
	s_add_u32 s59, s16, s4
	s_addc_u32 s60, s17, s5
	s_add_u32 s61, s59, -4
	s_addc_u32 s62, s60, -1
	s_add_u32 s63, s12, s10
	s_addc_u32 s64, s13, s11
	s_add_u32 s65, s63, 4
	s_addc_u32 s66, s64, 0
	s_add_u32 s67, s59, 4
	s_mov_b32 s16, 0x667f3bcd
	s_mov_b32 s18, 0.5
	v_mul_f32_e64 v8, s21, s21
	s_addc_u32 s68, s60, 0
	s_mov_b32 s69, 0
	v_mov_b32_e32 v9, 0
	s_mov_b32 s70, 0xf800000
	s_mov_b32 s71, 0x4f800000
	v_mov_b32_e32 v10, 0x260
	s_mov_b32 s17, 0x3ff6a09e
	s_mov_b32 s19, -0.5
	s_mov_b32 s72, 0
	s_mov_b32 s73, 0
	s_branch .LBB3_3
.LBB3_2:                                ;   in Loop: Header=BB3_3 Depth=1
	s_andn2_b64 vcc, exec, s[4:5]
	s_cbranch_vccz .LBB3_27
.LBB3_3:                                ; =>This Loop Header: Depth=1
                                        ;     Child Loop BB3_7 Depth 2
                                        ;     Child Loop BB3_15 Depth 2
	;; [unrolled: 1-line block ×8, first 2 shown]
                                        ;       Child Loop BB3_69 Depth 3
                                        ;       Child Loop BB3_81 Depth 3
                                        ;     Child Loop BB3_115 Depth 2
                                        ;       Child Loop BB3_117 Depth 3
                                        ;       Child Loop BB3_129 Depth 3
                                        ;     Child Loop BB3_59 Depth 2
                                        ;     Child Loop BB3_63 Depth 2
	s_mov_b32 s24, s72
	s_cmp_lt_i32 s72, 1
	s_cbranch_scc1 .LBB3_5
; %bb.4:                                ;   in Loop: Header=BB3_3 Depth=1
	s_mov_b32 s25, s69
	s_lshl_b64 s[4:5], s[24:25], 2
	s_add_u32 s4, s14, s4
	s_addc_u32 s5, s15, s5
	global_store_dword v9, v9, s[4:5] offset:-4
.LBB3_5:                                ;   in Loop: Header=BB3_3 Depth=1
	s_ashr_i32 s25, s24, 31
	s_lshl_b64 s[28:29], s[24:25], 2
	s_add_u32 s4, s61, s28
	s_addc_u32 s5, s62, s29
	s_add_u32 s8, s65, s28
	s_addc_u32 s9, s66, s29
	s_mov_b32 s26, s24
	s_mov_b64 s[30:31], -1
	s_cmp_ge_i32 s26, s58
	s_mov_b64 s[6:7], -1
                                        ; implicit-def: $sgpr72
	s_cbranch_scc1 .LBB3_7
.LBB3_6:                                ;   in Loop: Header=BB3_3 Depth=1
	global_load_dwordx2 v[0:1], v9, s[8:9] offset:-4
	global_load_dword v2, v9, s[4:5] offset:4
	s_add_u32 s34, s4, 4
	s_addc_u32 s35, s5, 0
	s_add_i32 s72, s26, 1
	s_add_u32 s8, s8, 4
	s_mov_b64 s[30:31], 0
	s_addc_u32 s9, s9, 0
	s_waitcnt vmcnt(1)
	v_mul_f32_e64 v3, |v0|, s71
	v_cmp_lt_f32_e64 vcc, |v0|, s70
	v_mul_f32_e64 v4, |v1|, s71
	v_cmp_lt_f32_e64 s[4:5], |v1|, s70
	v_cndmask_b32_e64 v0, |v0|, v3, vcc
	v_sqrt_f32_e32 v3, v0
	v_cndmask_b32_e64 v1, |v1|, v4, s[4:5]
	v_sqrt_f32_e32 v4, v1
	v_add_u32_e32 v5, -1, v3
	v_fma_f32 v12, -v5, v3, v0
	v_add_u32_e32 v7, -1, v4
	v_add_u32_e32 v6, 1, v3
	v_fma_f32 v14, -v7, v4, v1
	v_cmp_ge_f32_e64 s[6:7], 0, v12
	v_add_u32_e32 v11, 1, v4
	v_fma_f32 v13, -v6, v3, v0
	v_cndmask_b32_e64 v3, v3, v5, s[6:7]
	v_cmp_ge_f32_e64 s[6:7], 0, v14
	v_fma_f32 v15, -v11, v4, v1
	s_nop 0
	v_cndmask_b32_e64 v4, v4, v7, s[6:7]
	v_cmp_lt_f32_e64 s[6:7], 0, v13
	s_nop 1
	v_cndmask_b32_e64 v3, v3, v6, s[6:7]
	v_cmp_lt_f32_e64 s[6:7], 0, v15
	v_mul_f32_e32 v5, 0x37800000, v3
	v_cndmask_b32_e32 v3, v3, v5, vcc
	v_cndmask_b32_e64 v4, v4, v11, s[6:7]
	v_mul_f32_e32 v6, 0x37800000, v4
	v_cmp_class_f32_e32 vcc, v0, v10
	v_cndmask_b32_e64 v4, v4, v6, s[4:5]
	s_mov_b64 s[4:5], s[34:35]
	v_cndmask_b32_e32 v0, v3, v0, vcc
	v_cmp_class_f32_e32 vcc, v1, v10
	s_nop 1
	v_cndmask_b32_e32 v1, v4, v1, vcc
	v_mul_f32_e32 v0, v0, v1
	v_mul_f32_e32 v0, s21, v0
	s_waitcnt vmcnt(0)
	v_cmp_le_f32_e64 s[6:7], |v2|, v0
.LBB3_7:                                ;   Parent Loop BB3_3 Depth=1
                                        ; =>  This Inner Loop Header: Depth=2
	s_andn2_b64 vcc, exec, s[6:7]
	s_cbranch_vccz .LBB3_9
; %bb.8:                                ;   in Loop: Header=BB3_7 Depth=2
	s_mov_b32 s26, s72
	s_mov_b64 s[30:31], -1
	s_cmp_ge_i32 s26, s58
	s_mov_b64 s[6:7], -1
                                        ; implicit-def: $sgpr72
	s_cbranch_scc0 .LBB3_6
	s_branch .LBB3_7
.LBB3_9:                                ;   in Loop: Header=BB3_3 Depth=1
	s_andn2_b64 vcc, exec, s[30:31]
	s_mov_b64 s[6:7], -1
	s_cbranch_vccnz .LBB3_19
; %bb.10:                               ;   in Loop: Header=BB3_3 Depth=1
	s_andn2_b64 vcc, exec, s[6:7]
	s_cbranch_vccz .LBB3_20
.LBB3_11:                               ;   in Loop: Header=BB3_3 Depth=1
	s_cmp_lg_u32 s26, s24
	s_mov_b64 s[8:9], -1
	s_cbranch_scc0 .LBB3_21
.LBB3_12:                               ;   in Loop: Header=BB3_3 Depth=1
	s_ashr_i32 s27, s26, 31
	s_lshl_b64 s[4:5], s[26:27], 2
	s_add_u32 s30, s56, s4
	s_addc_u32 s31, s57, s5
	global_load_dword v0, v9, s[30:31]
	s_cmp_gt_i32 s26, s24
	s_cselect_b64 s[6:7], -1, 0
	s_cmp_le_i32 s26, s24
	s_waitcnt vmcnt(0)
	v_and_b32_e32 v11, 0x7fffffff, v0
	s_cbranch_scc1 .LBB3_25
; %bb.13:                               ;   in Loop: Header=BB3_3 Depth=1
	s_sub_i32 s34, s26, s24
	s_cmp_lt_u32 s34, 2
	s_cbranch_scc1 .LBB3_22
; %bb.14:                               ;   in Loop: Header=BB3_3 Depth=1
	s_and_b32 s27, s34, -2
	s_add_i32 s36, s27, -2
	s_mov_b32 s37, 0
	v_mov_b32_e32 v1, v11
.LBB3_15:                               ;   Parent Loop BB3_3 Depth=1
                                        ; =>  This Inner Loop Header: Depth=2
	s_add_i32 s4, s24, s37
	s_ashr_i32 s5, s4, 31
	s_lshl_b64 s[4:5], s[4:5], 2
	s_add_u32 s38, s56, s4
	s_addc_u32 s39, s57, s5
	s_add_u32 s4, s14, s4
	s_addc_u32 s5, s15, s5
	global_load_dwordx2 v[4:5], v9, s[38:39]
	global_load_dwordx2 v[6:7], v9, s[4:5]
	v_mov_b32_e32 v3, v1
	v_mov_b32_e32 v2, v11
	v_max_f32_e32 v1, v3, v3
	s_mov_b32 s35, s37
	v_max_f32_e32 v11, v2, v2
	s_add_i32 s37, s37, 2
	s_cmp_lg_u32 s36, s35
	s_cselect_b64 s[38:39], -1, 0
	s_waitcnt vmcnt(1)
	v_max_f32_e64 v5, |v5|, |v5|
	s_waitcnt vmcnt(0)
	v_max_f32_e64 v7, |v7|, |v7|
	v_max_f32_e64 v4, |v4|, |v4|
	;; [unrolled: 1-line block ×3, first 2 shown]
	v_max_f32_e32 v5, v5, v7
	v_max_f32_e32 v4, v4, v6
	v_cmp_u_f32_e32 vcc, v5, v5
	v_max_f32_e32 v1, v1, v5
	v_max_f32_e32 v11, v11, v4
	v_cndmask_b32_e64 v5, 0, 1, vcc
	v_cmp_u_f32_e32 vcc, v4, v4
	v_readfirstlane_b32 s4, v5
	s_lshl_b32 s4, s4, 1
	v_cndmask_b32_e64 v4, 0, 1, vcc
	s_nop 0
	v_readfirstlane_b32 s5, v4
	s_or_b32 s4, s5, s4
	s_and_b32 s40, s4, 3
	s_cmp_lg_u32 s40, 0
	s_cselect_b64 s[4:5], -1, 0
	s_cmp_eq_u32 s40, 0
	s_cselect_b64 s[40:41], -1, 0
	s_and_b64 s[38:39], s[40:41], s[38:39]
	s_and_b64 vcc, exec, s[38:39]
	s_cbranch_vccnz .LBB3_15
; %bb.16:                               ;   in Loop: Header=BB3_3 Depth=1
	s_xor_b64 s[36:37], s[4:5], -1
	s_cmp_eq_u32 s34, s27
	s_cselect_b64 s[40:41], -1, 0
	s_and_b64 s[36:37], s[40:41], s[36:37]
	s_mov_b64 s[38:39], 0
	s_and_b64 vcc, exec, s[36:37]
                                        ; implicit-def: $sgpr34
                                        ; implicit-def: $sgpr36_sgpr37
	s_cbranch_vccnz .LBB3_18
; %bb.17:                               ;   in Loop: Header=BB3_3 Depth=1
	s_and_b64 s[36:37], s[4:5], exec
	s_cselect_b32 s27, s35, s27
	s_add_i32 s34, s24, s27
	s_ashr_i32 s35, s34, 31
	s_lshl_b64 s[36:37], s[34:35], 2
	s_mov_b64 s[38:39], -1
.LBB3_18:                               ;   in Loop: Header=BB3_3 Depth=1
	v_cndmask_b32_e64 v2, v11, v2, s[4:5]
	v_cndmask_b32_e64 v1, v1, v3, s[4:5]
	v_max_f32_e32 v1, v1, v1
	v_max_f32_e32 v2, v2, v2
	;; [unrolled: 1-line block ×3, first 2 shown]
	s_and_b64 vcc, exec, s[38:39]
	s_cbranch_vccnz .LBB3_23
	s_branch .LBB3_25
.LBB3_19:                               ;   in Loop: Header=BB3_3 Depth=1
	global_store_dword v9, v9, s[4:5]
	s_cbranch_execnz .LBB3_11
.LBB3_20:                               ;   in Loop: Header=BB3_3 Depth=1
	s_max_i32 s26, s24, s58
	s_add_i32 s72, s26, 1
	s_cmp_lg_u32 s26, s24
	s_mov_b64 s[8:9], -1
	s_cbranch_scc1 .LBB3_12
.LBB3_21:                               ;   in Loop: Header=BB3_3 Depth=1
                                        ; implicit-def: $sgpr30_sgpr31
                                        ; implicit-def: $vgpr0
                                        ; implicit-def: $sgpr6_sgpr7
                                        ; implicit-def: $vgpr11
	s_mov_b64 s[4:5], -1
	s_cbranch_execz .LBB3_2
	s_branch .LBB3_26
.LBB3_22:                               ;   in Loop: Header=BB3_3 Depth=1
	s_mov_b32 s34, s24
	s_mov_b64 s[36:37], s[28:29]
	s_cbranch_execz .LBB3_25
.LBB3_23:                               ;   in Loop: Header=BB3_3 Depth=1
	s_add_u32 s4, s63, s36
	s_addc_u32 s5, s64, s37
	s_add_u32 s36, s59, s36
	s_addc_u32 s37, s60, s37
.LBB3_24:                               ;   Parent Loop BB3_3 Depth=1
                                        ; =>  This Inner Loop Header: Depth=2
	global_load_dword v1, v9, s[4:5]
	global_load_dword v2, v9, s[36:37]
	s_add_i32 s34, s34, 1
	s_add_u32 s4, s4, 4
	s_addc_u32 s5, s5, 0
	s_add_u32 s36, s36, 4
	s_addc_u32 s37, s37, 0
	s_cmp_lt_i32 s34, s26
	s_waitcnt vmcnt(0)
	v_max3_f32 v11, v11, |v1|, |v2|
	s_cbranch_scc1 .LBB3_24
.LBB3_25:                               ;   in Loop: Header=BB3_3 Depth=1
	v_cmp_eq_f32_e64 s[4:5], 0, v11
	s_and_b64 vcc, exec, s[4:5]
	s_mov_b64 s[4:5], -1
	s_cbranch_vccz .LBB3_2
.LBB3_26:                               ;   in Loop: Header=BB3_3 Depth=1
	s_cmp_ge_i32 s72, s33
	s_mov_b64 s[8:9], 0
	s_cselect_b64 s[4:5], -1, 0
	s_branch .LBB3_2
.LBB3_27:                               ;   in Loop: Header=BB3_3 Depth=1
	s_mov_b64 s[4:5], -1
	s_and_b64 vcc, exec, s[8:9]
                                        ; implicit-def: $sgpr27
	s_cbranch_vccz .LBB3_65
; %bb.28:                               ;   in Loop: Header=BB3_3 Depth=1
	v_cmp_nlt_f32_e32 vcc, s23, v11
	s_cbranch_vccz .LBB3_34
; %bb.29:                               ;   in Loop: Header=BB3_3 Depth=1
	v_cmp_gt_f32_e32 vcc, s22, v11
	s_cbranch_vccz .LBB3_35
; %bb.30:                               ;   in Loop: Header=BB3_3 Depth=1
	v_div_scale_f32 v1, s[4:5], s22, s22, v11
	v_rcp_f32_e32 v2, v1
	v_div_scale_f32 v3, vcc, v11, s22, v11
	s_mov_b64 s[4:5], 0
	v_fma_f32 v4, -v1, v2, 1.0
	v_fmac_f32_e32 v2, v4, v2
	v_mul_f32_e32 v4, v3, v2
	v_fma_f32 v5, -v1, v4, v3
	v_fmac_f32_e32 v4, v5, v2
	v_fma_f32 v1, -v1, v4, v3
	v_div_fmas_f32 v1, v1, v2, v4
	v_div_fixup_f32 v1, v1, s22, v11
	v_mul_f32_e32 v2, v0, v1
	s_and_b64 vcc, exec, s[6:7]
	global_store_dword v9, v2, s[30:31]
	s_cbranch_vccz .LBB3_35
; %bb.31:                               ;   in Loop: Header=BB3_3 Depth=1
	s_add_u32 s4, s63, s28
	s_addc_u32 s5, s64, s29
	s_add_u32 s8, s59, s28
	s_addc_u32 s9, s60, s29
	s_mov_b32 s27, s24
.LBB3_32:                               ;   Parent Loop BB3_3 Depth=1
                                        ; =>  This Inner Loop Header: Depth=2
	global_load_dword v2, v9, s[4:5]
	s_add_i32 s27, s27, 1
	s_waitcnt vmcnt(0)
	v_mul_f32_e32 v2, v1, v2
	global_store_dword v9, v2, s[4:5]
	global_load_dword v2, v9, s[8:9]
	s_add_u32 s4, s4, 4
	s_addc_u32 s5, s5, 0
	s_waitcnt vmcnt(0)
	v_mul_f32_e32 v2, v1, v2
	global_store_dword v9, v2, s[8:9]
	s_add_u32 s8, s8, 4
	s_addc_u32 s9, s9, 0
	s_cmp_lt_i32 s27, s26
	s_cbranch_scc1 .LBB3_32
; %bb.33:                               ;   in Loop: Header=BB3_3 Depth=1
	s_mov_b64 s[4:5], -1
	s_branch .LBB3_40
.LBB3_34:                               ;   in Loop: Header=BB3_3 Depth=1
	s_mov_b64 s[4:5], 0
	s_cbranch_execnz .LBB3_36
	s_branch .LBB3_40
.LBB3_35:                               ;   in Loop: Header=BB3_3 Depth=1
	s_branch .LBB3_40
.LBB3_36:                               ;   in Loop: Header=BB3_3 Depth=1
	v_div_scale_f32 v1, s[8:9], s23, s23, v11
	v_rcp_f32_e32 v2, v1
	v_div_scale_f32 v3, vcc, v11, s23, v11
	v_fma_f32 v4, -v1, v2, 1.0
	v_fmac_f32_e32 v2, v4, v2
	v_mul_f32_e32 v4, v3, v2
	v_fma_f32 v5, -v1, v4, v3
	v_fmac_f32_e32 v4, v5, v2
	v_fma_f32 v1, -v1, v4, v3
	v_div_fmas_f32 v1, v1, v2, v4
	v_div_fixup_f32 v1, v1, s23, v11
	v_mul_f32_e32 v0, v0, v1
	s_and_b64 vcc, exec, s[6:7]
	global_store_dword v9, v0, s[30:31]
	s_cbranch_vccz .LBB3_40
; %bb.37:                               ;   in Loop: Header=BB3_3 Depth=1
	s_add_u32 s4, s63, s28
	s_addc_u32 s5, s64, s29
	s_add_u32 s8, s59, s28
	s_addc_u32 s9, s60, s29
	s_mov_b32 s27, s24
.LBB3_38:                               ;   Parent Loop BB3_3 Depth=1
                                        ; =>  This Inner Loop Header: Depth=2
	global_load_dword v0, v9, s[4:5]
	s_add_i32 s27, s27, 1
	s_waitcnt vmcnt(0)
	v_mul_f32_e32 v0, v1, v0
	global_store_dword v9, v0, s[4:5]
	global_load_dword v0, v9, s[8:9]
	s_add_u32 s4, s4, 4
	s_addc_u32 s5, s5, 0
	s_waitcnt vmcnt(0)
	v_mul_f32_e32 v0, v1, v0
	global_store_dword v9, v0, s[8:9]
	s_add_u32 s8, s8, 4
	s_addc_u32 s9, s9, 0
	s_cmp_ge_i32 s27, s26
	s_cbranch_scc0 .LBB3_38
; %bb.39:                               ;   in Loop: Header=BB3_3 Depth=1
	s_mov_b64 s[4:5], -1
.LBB3_40:                               ;   in Loop: Header=BB3_3 Depth=1
	v_cndmask_b32_e64 v0, 0, 1, s[6:7]
	s_and_b64 vcc, exec, s[4:5]
	v_cmp_ne_u32_e64 s[4:5], 1, v0
	s_cbranch_vccz .LBB3_50
; %bb.41:                               ;   in Loop: Header=BB3_3 Depth=1
	s_and_b64 vcc, exec, s[4:5]
	s_cbranch_vccnz .LBB3_50
; %bb.42:                               ;   in Loop: Header=BB3_3 Depth=1
	s_add_i32 s6, s24, 1
	s_max_i32 s6, s26, s6
	s_sub_i32 s27, s6, s24
	s_mov_b64 s[34:35], -1
	s_cmp_lt_u32 s27, 2
	s_mov_b32 s6, s24
	s_mov_b64 s[8:9], s[28:29]
	s_cbranch_scc1 .LBB3_47
; %bb.43:                               ;   in Loop: Header=BB3_3 Depth=1
	s_and_b32 s36, s27, -2
	s_mov_b32 s6, s24
	s_mov_b32 s8, s36
.LBB3_44:                               ;   Parent Loop BB3_3 Depth=1
                                        ; =>  This Inner Loop Header: Depth=2
	s_ashr_i32 s7, s6, 31
	s_lshl_b64 s[34:35], s[6:7], 2
	s_add_u32 s34, s14, s34
	s_addc_u32 s35, s15, s35
	global_load_dwordx2 v[0:1], v9, s[34:35]
	s_add_i32 s8, s8, -2
	s_add_i32 s6, s6, 2
	s_cmp_lg_u32 s8, 0
	s_waitcnt vmcnt(0)
	v_pk_mul_f32 v[0:1], v[0:1], v[0:1]
	global_store_dwordx2 v9, v[0:1], s[34:35]
	s_cbranch_scc1 .LBB3_44
; %bb.45:                               ;   in Loop: Header=BB3_3 Depth=1
	s_cmp_eq_u32 s27, s36
	s_mov_b64 s[34:35], 0
                                        ; implicit-def: $sgpr6
                                        ; implicit-def: $sgpr8_sgpr9
	s_cbranch_scc1 .LBB3_47
; %bb.46:                               ;   in Loop: Header=BB3_3 Depth=1
	s_add_i32 s6, s24, s36
	s_ashr_i32 s7, s6, 31
	s_lshl_b64 s[8:9], s[6:7], 2
	s_mov_b64 s[34:35], -1
.LBB3_47:                               ;   in Loop: Header=BB3_3 Depth=1
	s_and_b64 vcc, exec, s[34:35]
	s_cbranch_vccz .LBB3_50
; %bb.48:                               ;   in Loop: Header=BB3_3 Depth=1
	s_add_u32 s8, s59, s8
	s_addc_u32 s9, s60, s9
.LBB3_49:                               ;   Parent Loop BB3_3 Depth=1
                                        ; =>  This Inner Loop Header: Depth=2
	global_load_dword v0, v9, s[8:9]
	s_add_i32 s6, s6, 1
	s_waitcnt vmcnt(0)
	v_mul_f32_e32 v0, v0, v0
	global_store_dword v9, v0, s[8:9]
	s_add_u32 s8, s8, 4
	s_addc_u32 s9, s9, 0
	s_cmp_lt_i32 s6, s26
	s_cbranch_scc1 .LBB3_49
.LBB3_50:                               ;   in Loop: Header=BB3_3 Depth=1
	s_lshl_b64 s[6:7], s[24:25], 2
	s_add_u32 s6, s56, s6
	s_addc_u32 s7, s57, s7
	global_load_dword v0, v9, s[30:31]
	global_load_dword v1, v9, s[6:7]
	s_mov_b64 s[8:9], -1
                                        ; implicit-def: $sgpr27
	s_waitcnt vmcnt(0)
	v_cmp_lt_f32_e64 s[6:7], |v0|, |v1|
	s_and_b64 s[6:7], s[6:7], exec
	s_cselect_b32 s25, s24, s26
	s_cselect_b32 s34, s26, s24
	s_cmp_lt_i32 s73, s20
	s_cselect_b64 s[6:7], -1, 0
	v_cndmask_b32_e64 v0, 0, 1, s[6:7]
	s_cmp_lt_i32 s25, s34
	v_cmp_ne_u32_e64 s[6:7], 1, v0
	s_cbranch_scc0 .LBB3_53
; %bb.51:                               ;   in Loop: Header=BB3_3 Depth=1
	s_andn2_b64 vcc, exec, s[8:9]
	s_cbranch_vccz .LBB3_55
.LBB3_52:                               ;   in Loop: Header=BB3_3 Depth=1
	v_cmp_lt_f32_e32 vcc, s23, v11
	s_andn2_b64 vcc, exec, vcc
	s_cbranch_vccz .LBB3_57
	s_branch .LBB3_60
.LBB3_53:                               ;   in Loop: Header=BB3_3 Depth=1
	s_and_b64 vcc, exec, s[6:7]
	s_mov_b32 s27, s73
	s_mov_b32 s36, s34
	s_cbranch_vccz .LBB3_67
.LBB3_54:                               ;   in Loop: Header=BB3_3 Depth=1
	s_cbranch_execnz .LBB3_52
.LBB3_55:                               ;   in Loop: Header=BB3_3 Depth=1
	s_and_b64 vcc, exec, s[6:7]
	s_cbranch_vccz .LBB3_115
.LBB3_56:                               ;   in Loop: Header=BB3_3 Depth=1
	s_mov_b32 s27, s73
	v_cmp_lt_f32_e32 vcc, s23, v11
	s_andn2_b64 vcc, exec, vcc
	s_cbranch_vccnz .LBB3_60
.LBB3_57:                               ;   in Loop: Header=BB3_3 Depth=1
	global_load_dword v1, v9, s[30:31]
	v_div_scale_f32 v0, s[6:7], v11, v11, s23
	v_rcp_f32_e32 v2, v0
	v_div_scale_f32 v3, vcc, s23, v11, s23
	v_fma_f32 v4, -v0, v2, 1.0
	v_fmac_f32_e32 v2, v4, v2
	v_mul_f32_e32 v4, v3, v2
	v_fma_f32 v5, -v0, v4, v3
	v_fmac_f32_e32 v4, v5, v2
	v_fma_f32 v0, -v0, v4, v3
	v_div_fmas_f32 v0, v0, v2, v4
	v_div_fixup_f32 v0, v0, v11, s23
	s_and_b64 vcc, exec, s[4:5]
	s_waitcnt vmcnt(0)
	v_mul_f32_e32 v1, v0, v1
	global_store_dword v9, v1, s[30:31]
	s_cbranch_vccnz .LBB3_60
; %bb.58:                               ;   in Loop: Header=BB3_3 Depth=1
	s_add_u32 s6, s63, s28
	s_addc_u32 s7, s64, s29
	s_add_u32 s8, s59, s28
	s_addc_u32 s9, s60, s29
	s_mov_b32 s25, s24
.LBB3_59:                               ;   Parent Loop BB3_3 Depth=1
                                        ; =>  This Inner Loop Header: Depth=2
	global_load_dword v1, v9, s[6:7]
	s_add_i32 s25, s25, 1
	s_waitcnt vmcnt(0)
	v_mul_f32_e32 v1, v0, v1
	global_store_dword v9, v1, s[6:7]
	global_load_dword v1, v9, s[8:9]
	s_add_u32 s6, s6, 4
	s_addc_u32 s7, s7, 0
	s_waitcnt vmcnt(0)
	v_mul_f32_e32 v1, v0, v1
	global_store_dword v9, v1, s[8:9]
	s_add_u32 s8, s8, 4
	s_addc_u32 s9, s9, 0
	s_cmp_lt_i32 s25, s26
	s_cbranch_scc1 .LBB3_59
.LBB3_60:                               ;   in Loop: Header=BB3_3 Depth=1
	v_cmp_ngt_f32_e32 vcc, s22, v11
	s_cbranch_vccnz .LBB3_64
; %bb.61:                               ;   in Loop: Header=BB3_3 Depth=1
	global_load_dword v1, v9, s[30:31]
	v_div_scale_f32 v0, s[6:7], v11, v11, s22
	v_rcp_f32_e32 v2, v0
	v_div_scale_f32 v3, vcc, s22, v11, s22
	v_fma_f32 v4, -v0, v2, 1.0
	v_fmac_f32_e32 v2, v4, v2
	v_mul_f32_e32 v4, v3, v2
	v_fma_f32 v5, -v0, v4, v3
	v_fmac_f32_e32 v4, v5, v2
	v_fma_f32 v0, -v0, v4, v3
	v_div_fmas_f32 v0, v0, v2, v4
	v_div_fixup_f32 v0, v0, v11, s22
	s_and_b64 vcc, exec, s[4:5]
	s_waitcnt vmcnt(0)
	v_mul_f32_e32 v1, v0, v1
	global_store_dword v9, v1, s[30:31]
	s_cbranch_vccnz .LBB3_64
; %bb.62:                               ;   in Loop: Header=BB3_3 Depth=1
	s_add_u32 s4, s63, s28
	s_addc_u32 s5, s64, s29
	s_add_u32 s6, s59, s28
	s_addc_u32 s7, s60, s29
.LBB3_63:                               ;   Parent Loop BB3_3 Depth=1
                                        ; =>  This Inner Loop Header: Depth=2
	global_load_dword v1, v9, s[4:5]
	s_add_i32 s24, s24, 1
	s_waitcnt vmcnt(0)
	v_mul_f32_e32 v1, v0, v1
	global_store_dword v9, v1, s[4:5]
	global_load_dword v1, v9, s[6:7]
	s_add_u32 s4, s4, 4
	s_addc_u32 s5, s5, 0
	s_waitcnt vmcnt(0)
	v_mul_f32_e32 v1, v0, v1
	global_store_dword v9, v1, s[6:7]
	s_add_u32 s6, s6, 4
	s_addc_u32 s7, s7, 0
	s_cmp_lt_i32 s24, s26
	s_cbranch_scc1 .LBB3_63
.LBB3_64:                               ;   in Loop: Header=BB3_3 Depth=1
	s_cmp_ge_i32 s27, s20
	s_cselect_b64 s[4:5], -1, 0
	s_cmp_ge_i32 s72, s33
	s_cselect_b64 s[6:7], -1, 0
	s_or_b64 s[4:5], s[6:7], s[4:5]
.LBB3_65:                               ;   in Loop: Header=BB3_3 Depth=1
	s_and_b64 vcc, exec, s[4:5]
	s_mov_b32 s73, s27
	s_cbranch_vccz .LBB3_3
	s_branch .LBB3_162
.LBB3_66:                               ;   in Loop: Header=BB3_67 Depth=2
	s_andn2_b64 vcc, exec, s[38:39]
	s_cbranch_vccz .LBB3_54
.LBB3_67:                               ;   Parent Loop BB3_3 Depth=1
                                        ; =>  This Loop Header: Depth=2
                                        ;       Child Loop BB3_69 Depth 3
                                        ;       Child Loop BB3_81 Depth 3
	s_ashr_i32 s37, s36, 31
	s_max_i32 s42, s25, s36
	s_lshl_b64 s[44:45], s[36:37], 2
	s_add_u32 s8, s61, s44
	s_addc_u32 s9, s62, s45
	s_add_u32 s38, s65, s44
	s_addc_u32 s39, s66, s45
	s_mov_b32 s35, s36
	s_mov_b64 s[40:41], -1
	s_cmp_ge_i32 s35, s25
	s_mov_b64 s[46:47], -1
                                        ; implicit-def: $sgpr37
	s_cbranch_scc1 .LBB3_69
.LBB3_68:                               ;   in Loop: Header=BB3_67 Depth=2
	global_load_dwordx2 v[0:1], v9, s[38:39] offset:-4
	global_load_dword v2, v9, s[8:9] offset:4
	s_add_u32 s8, s8, 4
	s_addc_u32 s9, s9, 0
	s_add_i32 s37, s35, 1
	s_add_u32 s38, s38, 4
	s_mov_b64 s[40:41], 0
	s_addc_u32 s39, s39, 0
	s_waitcnt vmcnt(1)
	v_mul_f32_e32 v0, v0, v1
	v_mul_f32_e64 v0, v8, |v0|
	s_waitcnt vmcnt(0)
	v_cmp_le_f32_e64 s[46:47], |v2|, v0
.LBB3_69:                               ;   Parent Loop BB3_3 Depth=1
                                        ;     Parent Loop BB3_67 Depth=2
                                        ; =>    This Inner Loop Header: Depth=3
	s_andn2_b64 vcc, exec, s[46:47]
	s_cbranch_vccz .LBB3_71
; %bb.70:                               ;   in Loop: Header=BB3_69 Depth=3
	s_mov_b32 s35, s37
	s_mov_b64 s[40:41], -1
	s_cmp_ge_i32 s35, s25
	s_mov_b64 s[46:47], -1
                                        ; implicit-def: $sgpr37
	s_cbranch_scc0 .LBB3_68
	s_branch .LBB3_69
.LBB3_71:                               ;   in Loop: Header=BB3_67 Depth=2
	s_andn2_b64 vcc, exec, s[40:41]
	s_cbranch_vccz .LBB3_73
; %bb.72:                               ;   in Loop: Header=BB3_67 Depth=2
	s_mov_b32 s42, s35
	global_store_dword v9, v9, s[8:9]
.LBB3_73:                               ;   in Loop: Header=BB3_67 Depth=2
	s_add_i32 s8, s36, 1
	s_cmp_eq_u32 s42, s36
	s_mov_b64 s[38:39], -1
	s_cbranch_scc1 .LBB3_89
; %bb.74:                               ;   in Loop: Header=BB3_67 Depth=2
	s_add_u32 s40, s56, s44
	s_addc_u32 s41, s57, s45
	global_load_dword v12, v9, s[40:41]
	s_cmp_lg_u32 s42, s8
	s_cbranch_scc0 .LBB3_90
; %bb.75:                               ;   in Loop: Header=BB3_67 Depth=2
	s_mov_b64 s[46:47], 0
	s_cmp_lg_u32 s27, s20
	s_mov_b32 s35, s20
	s_mov_b64 s[8:9], 0
	s_cbranch_scc0 .LBB3_91
; %bb.76:                               ;   in Loop: Header=BB3_67 Depth=2
	s_add_u32 s48, s14, s44
	s_addc_u32 s49, s15, s45
	global_load_dword v0, v9, s[48:49]
	s_ashr_i32 s43, s42, 31
	s_lshl_b64 s[52:53], s[42:43], 2
	s_add_u32 s50, s56, s52
	s_addc_u32 s51, s57, s53
	global_load_dword v1, v9, s[50:51]
	global_load_dword v2, v9, s[40:41] offset:4
	s_cmp_le_i32 s42, s36
	s_waitcnt vmcnt(2)
	v_mul_f32_e32 v3, 0x4f800000, v0
	v_cmp_gt_f32_e32 vcc, s70, v0
	s_waitcnt vmcnt(0)
	v_sub_f32_e32 v2, v2, v12
	v_cndmask_b32_e32 v0, v0, v3, vcc
	v_sqrt_f32_e32 v3, v0
	s_nop 0
	v_add_u32_e32 v4, -1, v3
	v_add_u32_e32 v5, 1, v3
	v_fma_f32 v6, -v4, v3, v0
	v_fma_f32 v7, -v5, v3, v0
	v_cmp_ge_f32_e64 s[8:9], 0, v6
	s_nop 1
	v_cndmask_b32_e64 v3, v3, v4, s[8:9]
	v_cmp_lt_f32_e64 s[8:9], 0, v7
	s_nop 1
	v_cndmask_b32_e64 v3, v3, v5, s[8:9]
	v_mul_f32_e32 v4, 0x37800000, v3
	v_cndmask_b32_e32 v3, v3, v4, vcc
	v_cmp_class_f32_e32 vcc, v0, v10
	s_nop 1
	v_cndmask_b32_e32 v0, v3, v0, vcc
	v_add_f32_e32 v3, v0, v0
	v_div_scale_f32 v4, s[8:9], v3, v3, v2
	v_rcp_f32_e32 v5, v4
	v_div_scale_f32 v6, vcc, v2, v3, v2
	v_fma_f32 v7, -v4, v5, 1.0
	v_fmac_f32_e32 v5, v7, v5
	v_mul_f32_e32 v7, v6, v5
	v_fma_f32 v13, -v4, v7, v6
	v_fmac_f32_e32 v7, v13, v5
	v_fma_f32 v4, -v4, v7, v6
	v_div_fmas_f32 v4, v4, v5, v7
	v_div_fixup_f32 v2, v4, v3, v2
	v_fma_f32 v3, v2, v2, 1.0
	v_mul_f32_e32 v4, 0x4f800000, v3
	v_cmp_gt_f32_e32 vcc, s70, v3
	s_nop 1
	v_cndmask_b32_e32 v3, v3, v4, vcc
	v_sqrt_f32_e32 v4, v3
	s_nop 0
	v_add_u32_e32 v5, -1, v4
	v_add_u32_e32 v6, 1, v4
	v_fma_f32 v7, -v5, v4, v3
	v_fma_f32 v13, -v6, v4, v3
	v_cmp_ge_f32_e64 s[8:9], 0, v7
	s_nop 1
	v_cndmask_b32_e64 v4, v4, v5, s[8:9]
	v_cmp_lt_f32_e64 s[8:9], 0, v13
	s_nop 1
	v_cndmask_b32_e64 v4, v4, v6, s[8:9]
	v_mul_f32_e32 v5, 0x37800000, v4
	v_cndmask_b32_e32 v4, v4, v5, vcc
	v_cmp_class_f32_e32 vcc, v3, v10
	s_nop 1
	v_cndmask_b32_e32 v3, v4, v3, vcc
	v_cmp_nle_f32_e32 vcc, 0, v2
	s_nop 1
	v_cndmask_b32_e64 v3, |v3|, -|v3|, vcc
	v_add_f32_e32 v2, v2, v3
	v_div_scale_f32 v3, s[8:9], v2, v2, v0
	v_rcp_f32_e32 v4, v3
	v_div_scale_f32 v5, vcc, v0, v2, v0
	v_fma_f32 v6, -v3, v4, 1.0
	v_fmac_f32_e32 v4, v6, v4
	v_mul_f32_e32 v6, v5, v4
	v_fma_f32 v7, -v3, v6, v5
	v_fmac_f32_e32 v6, v7, v4
	v_fma_f32 v3, -v3, v6, v5
	v_div_fmas_f32 v3, v3, v4, v6
	v_div_fixup_f32 v0, v3, v2, v0
	v_sub_f32_e32 v13, v12, v0
	v_sub_f32_e32 v7, v1, v13
	v_mul_f32_e32 v0, v7, v7
	v_mov_b32_e32 v1, 0
	s_cbranch_scc1 .LBB3_97
; %bb.77:                               ;   in Loop: Header=BB3_67 Depth=2
	s_add_u32 s8, s14, s52
	s_addc_u32 s9, s15, s53
	global_load_dword v14, v9, s[8:9] offset:-4
	global_load_dword v15, v9, s[50:51] offset:-4
	s_waitcnt vmcnt(1)
	v_add_f32_e32 v2, v0, v14
	v_div_scale_f32 v1, s[8:9], v2, v2, v14
	v_div_scale_f32 v4, s[8:9], v2, v2, v0
	v_rcp_f32_e32 v5, v1
	v_rcp_f32_e32 v16, v4
	v_div_scale_f32 v3, vcc, v14, v2, v14
	v_fma_f32 v18, -v1, v5, 1.0
	v_fma_f32 v19, -v4, v16, 1.0
	v_fmac_f32_e32 v5, v18, v5
	v_div_scale_f32 v17, s[8:9], v0, v2, v0
	v_fmac_f32_e32 v16, v19, v16
	v_mul_f32_e32 v18, v3, v5
	v_mul_f32_e32 v19, v17, v16
	v_fma_f32 v20, -v1, v18, v3
	v_fma_f32 v21, -v4, v19, v17
	v_fmac_f32_e32 v18, v20, v5
	v_fmac_f32_e32 v19, v21, v16
	v_fma_f32 v1, -v1, v18, v3
	v_fma_f32 v3, -v4, v19, v17
	v_div_fmas_f32 v1, v1, v5, v18
	s_mov_b64 vcc, s[8:9]
	v_div_fixup_f32 v1, v1, v2, v14
	v_div_fmas_f32 v3, v3, v16, v19
	s_waitcnt vmcnt(0)
	v_sub_f32_e32 v6, v15, v13
	v_div_fixup_f32 v2, v3, v2, v0
	v_mov_b32_e32 v3, v1
	v_mul_f32_e32 v0, v7, v1
	v_pk_fma_f32 v[4:5], v[6:7], v[2:3], v[0:1] op_sel_hi:[1,1,0] neg_lo:[0,0,1] neg_hi:[0,0,1]
	v_cmp_eq_f32_e32 vcc, 0, v2
	v_sub_f32_e32 v0, v15, v4
	v_add_f32_e32 v0, v7, v0
	global_store_dword v9, v0, s[50:51]
	s_cbranch_vccnz .LBB3_79
; %bb.78:                               ;   in Loop: Header=BB3_67 Depth=2
	v_mul_f32_e32 v0, v4, v4
	v_div_scale_f32 v3, s[8:9], v2, v2, v0
	v_rcp_f32_e32 v5, v3
	v_div_scale_f32 v6, vcc, v0, v2, v0
	v_fma_f32 v7, -v3, v5, 1.0
	v_fmac_f32_e32 v5, v7, v5
	v_mul_f32_e32 v7, v6, v5
	v_fma_f32 v14, -v3, v7, v6
	v_fmac_f32_e32 v7, v14, v5
	v_fma_f32 v3, -v3, v7, v6
	v_div_fmas_f32 v3, v3, v5, v7
	v_div_fixup_f32 v14, v3, v2, v0
.LBB3_79:                               ;   in Loop: Header=BB3_67 Depth=2
	s_add_i32 s8, s42, -1
	s_cmp_le_i32 s8, s36
	s_cbranch_scc1 .LBB3_96
; %bb.80:                               ;   in Loop: Header=BB3_67 Depth=2
	s_add_i32 s8, s42, -2
	s_ashr_i32 s9, s8, 31
	s_lshl_b64 s[8:9], s[8:9], 2
	s_add_u32 s52, s65, s8
	s_addc_u32 s53, s66, s9
	s_add_u32 s8, s67, s8
	s_addc_u32 s9, s68, s9
	s_mov_b32 s35, -1
.LBB3_81:                               ;   Parent Loop BB3_3 Depth=1
                                        ;     Parent Loop BB3_67 Depth=2
                                        ; =>    This Inner Loop Header: Depth=3
	global_load_dword v3, v9, s[8:9] offset:-4
	s_add_u32 s50, s8, -4
	s_addc_u32 s51, s9, -1
	v_mov_b32_e32 v7, v4
	s_cmp_eq_u32 s35, 0
	s_waitcnt vmcnt(0)
	v_add_f32_e32 v0, v14, v3
	s_cbranch_scc1 .LBB3_83
; %bb.82:                               ;   in Loop: Header=BB3_81 Depth=3
	v_mul_f32_e32 v1, v1, v0
	global_store_dword v9, v1, s[8:9]
.LBB3_83:                               ;   in Loop: Header=BB3_81 Depth=3
	global_load_dword v15, v9, s[52:53] offset:-4
	v_div_scale_f32 v1, s[8:9], v0, v0, v3
	v_div_scale_f32 v5, s[8:9], v0, v0, v14
	v_rcp_f32_e32 v16, v1
	v_rcp_f32_e32 v17, v5
	v_div_scale_f32 v4, vcc, v3, v0, v3
	v_fma_f32 v18, -v1, v16, 1.0
	v_fma_f32 v19, -v5, v17, 1.0
	v_fmac_f32_e32 v16, v18, v16
	v_div_scale_f32 v6, s[8:9], v14, v0, v14
	v_fmac_f32_e32 v17, v19, v17
	v_mul_f32_e32 v18, v4, v16
	v_mul_f32_e32 v19, v6, v17
	v_fma_f32 v20, -v1, v18, v4
	v_fma_f32 v21, -v5, v19, v6
	v_fmac_f32_e32 v18, v20, v16
	v_fmac_f32_e32 v19, v21, v17
	v_fma_f32 v1, -v1, v18, v4
	v_fma_f32 v4, -v5, v19, v6
	v_div_fmas_f32 v1, v1, v16, v18
	s_mov_b64 vcc, s[8:9]
	v_div_fixup_f32 v1, v1, v0, v3
	v_div_fmas_f32 v4, v4, v17, v19
	v_div_fixup_f32 v0, v4, v0, v14
	v_mul_f32_e32 v4, v7, v1
	s_add_u32 s54, s52, -4
	v_cmp_eq_f32_e32 vcc, 0, v0
	s_addc_u32 s55, s53, -1
	s_and_b64 vcc, exec, vcc
	s_waitcnt vmcnt(0)
	v_sub_f32_e32 v6, v15, v13
	v_pk_fma_f32 v[4:5], v[6:7], v[0:1], v[4:5] op_sel_hi:[1,1,0] neg_lo:[0,0,1] neg_hi:[0,0,1]
	s_nop 0
	v_sub_f32_e32 v5, v15, v4
	v_add_f32_e32 v5, v7, v5
	global_store_dword v9, v5, s[52:53]
	s_cbranch_vccz .LBB3_88
; %bb.84:                               ;   in Loop: Header=BB3_81 Depth=3
	v_mul_f32_e32 v14, v2, v3
	s_cbranch_execnz .LBB3_86
.LBB3_85:                               ;   in Loop: Header=BB3_81 Depth=3
	v_mul_f32_e32 v2, v4, v4
	v_div_scale_f32 v3, s[8:9], v0, v0, v2
	v_rcp_f32_e32 v5, v3
	v_div_scale_f32 v6, vcc, v2, v0, v2
	v_fma_f32 v7, -v3, v5, 1.0
	v_fmac_f32_e32 v5, v7, v5
	v_mul_f32_e32 v7, v6, v5
	v_fma_f32 v14, -v3, v7, v6
	v_fmac_f32_e32 v7, v14, v5
	v_fma_f32 v3, -v3, v7, v6
	v_div_fmas_f32 v3, v3, v5, v7
	v_div_fixup_f32 v14, v3, v0, v2
.LBB3_86:                               ;   in Loop: Header=BB3_81 Depth=3
	s_add_i32 s35, s35, -1
	s_add_i32 s8, s42, s35
	s_cmp_le_i32 s8, s36
	s_cbranch_scc1 .LBB3_96
; %bb.87:                               ;   in Loop: Header=BB3_81 Depth=3
	s_mov_b64 s[8:9], s[50:51]
	s_mov_b64 s[52:53], s[54:55]
	v_mov_b32_e32 v2, v0
	s_branch .LBB3_81
.LBB3_88:                               ;   in Loop: Header=BB3_81 Depth=3
                                        ; implicit-def: $vgpr14
	s_branch .LBB3_85
.LBB3_89:                               ;   in Loop: Header=BB3_67 Depth=2
	s_mov_b32 s36, s8
	s_branch .LBB3_112
.LBB3_90:                               ;   in Loop: Header=BB3_67 Depth=2
	s_mov_b64 s[46:47], -1
	s_mov_b64 s[8:9], 0
                                        ; implicit-def: $sgpr35
.LBB3_91:                               ;   in Loop: Header=BB3_67 Depth=2
	s_and_b64 vcc, exec, s[46:47]
	s_cbranch_vccz .LBB3_98
.LBB3_92:                               ;   in Loop: Header=BB3_67 Depth=2
	s_add_u32 s44, s14, s44
	s_addc_u32 s45, s15, s45
	global_load_dword v0, v9, s[44:45]
	s_ashr_i32 s43, s42, 31
	s_lshl_b64 s[8:9], s[42:43], 2
	s_add_u32 s42, s56, s8
	s_addc_u32 s43, s57, s9
	global_load_dword v2, v9, s[42:43]
	s_waitcnt vmcnt(1)
	v_mul_f32_e32 v1, 0x4f800000, v0
	v_cmp_gt_f32_e32 vcc, s70, v0
	s_waitcnt vmcnt(0)
	v_sub_f32_e32 v3, v12, v2
	v_cndmask_b32_e32 v0, v0, v1, vcc
	v_sqrt_f32_e32 v1, v0
	s_nop 0
	v_add_u32_e32 v4, -1, v1
	v_add_u32_e32 v5, 1, v1
	v_fma_f32 v6, -v4, v1, v0
	v_fma_f32 v7, -v5, v1, v0
	v_cmp_ge_f32_e64 s[8:9], 0, v6
	s_nop 1
	v_cndmask_b32_e64 v1, v1, v4, s[8:9]
	v_cmp_lt_f32_e64 s[8:9], 0, v7
	s_nop 1
	v_cndmask_b32_e64 v1, v1, v5, s[8:9]
	v_mul_f32_e32 v4, 0x37800000, v1
	v_cndmask_b32_e32 v1, v1, v4, vcc
	v_cmp_class_f32_e32 vcc, v0, v10
	s_nop 1
	v_cndmask_b32_e32 v1, v1, v0, vcc
	v_add_f32_e32 v4, v1, v1
	v_cmp_ngt_f32_e64 s[8:9], |v3|, |v4|
	v_and_b32_e32 v5, 0x7fffffff, v4
	s_and_b64 vcc, exec, s[8:9]
	s_cbranch_vccz .LBB3_95
; %bb.93:                               ;   in Loop: Header=BB3_67 Depth=2
	v_cmp_nlt_f32_e64 s[8:9], |v3|, |v4|
	s_and_b64 vcc, exec, s[8:9]
	s_cbranch_vccz .LBB3_99
; %bb.94:                               ;   in Loop: Header=BB3_67 Depth=2
	v_cvt_f64_f32_e32 v[6:7], v5
	v_mul_f64 v[6:7], v[6:7], s[16:17]
	v_cvt_f32_f64_e32 v0, v[6:7]
	s_cbranch_execz .LBB3_100
	s_branch .LBB3_101
.LBB3_95:                               ;   in Loop: Header=BB3_67 Depth=2
                                        ; implicit-def: $vgpr0
	s_branch .LBB3_102
.LBB3_96:                               ;   in Loop: Header=BB3_67 Depth=2
	v_mov_b32_e32 v0, v14
	v_mov_b32_e32 v7, v4
.LBB3_97:                               ;   in Loop: Header=BB3_67 Depth=2
	v_mul_f32_e32 v0, v1, v0
	global_store_dword v9, v0, s[48:49]
	v_add_f32_e32 v0, v13, v7
	s_add_i32 s35, s27, 1
	global_store_dword v9, v0, s[40:41]
	s_mov_b64 s[8:9], -1
	s_and_b64 vcc, exec, s[46:47]
	s_cbranch_vccnz .LBB3_92
.LBB3_98:                               ;   in Loop: Header=BB3_67 Depth=2
	s_mov_b32 s27, s35
	s_and_b64 vcc, exec, s[8:9]
	s_cbranch_vccz .LBB3_66
	s_branch .LBB3_113
.LBB3_99:                               ;   in Loop: Header=BB3_67 Depth=2
                                        ; implicit-def: $vgpr0
.LBB3_100:                              ;   in Loop: Header=BB3_67 Depth=2
	v_and_b32_e32 v0, 0x7fffffff, v3
	v_div_scale_f32 v6, s[8:9], v5, v5, v0
	v_rcp_f32_e32 v7, v6
	v_div_scale_f32 v0, vcc, v0, v5, v0
	v_fma_f32 v13, -v6, v7, 1.0
	v_fmac_f32_e32 v7, v13, v7
	v_mul_f32_e32 v13, v0, v7
	v_fma_f32 v14, -v6, v13, v0
	v_fmac_f32_e32 v13, v14, v7
	v_fma_f32 v0, -v6, v13, v0
	v_div_fmas_f32 v0, v0, v7, v13
	v_div_fixup_f32 v0, v0, |v4|, |v3|
	v_fma_f32 v0, v0, v0, 1.0
	v_mul_f32_e32 v6, 0x4f800000, v0
	v_cmp_gt_f32_e32 vcc, s70, v0
	s_nop 1
	v_cndmask_b32_e32 v0, v0, v6, vcc
	v_sqrt_f32_e32 v6, v0
	s_nop 0
	v_add_u32_e32 v7, -1, v6
	v_fma_f32 v13, -v7, v6, v0
	v_cmp_ge_f32_e64 s[8:9], 0, v13
	v_add_u32_e32 v13, 1, v6
	s_nop 0
	v_cndmask_b32_e64 v7, v6, v7, s[8:9]
	v_fma_f32 v6, -v13, v6, v0
	v_cmp_lt_f32_e64 s[8:9], 0, v6
	s_nop 1
	v_cndmask_b32_e64 v6, v7, v13, s[8:9]
	v_mul_f32_e32 v7, 0x37800000, v6
	v_cndmask_b32_e32 v6, v6, v7, vcc
	v_cmp_class_f32_e32 vcc, v0, v10
	s_nop 1
	v_cndmask_b32_e32 v0, v6, v0, vcc
	v_mul_f32_e64 v0, |v4|, v0
.LBB3_101:                              ;   in Loop: Header=BB3_67 Depth=2
	s_cbranch_execnz .LBB3_103
.LBB3_102:                              ;   in Loop: Header=BB3_67 Depth=2
	v_and_b32_e32 v0, 0x7fffffff, v3
	v_div_scale_f32 v6, s[8:9], v0, v0, v5
	v_rcp_f32_e32 v7, v6
	v_div_scale_f32 v0, vcc, v5, v0, v5
	v_fma_f32 v5, -v6, v7, 1.0
	v_fmac_f32_e32 v7, v5, v7
	v_mul_f32_e32 v5, v0, v7
	v_fma_f32 v13, -v6, v5, v0
	v_fmac_f32_e32 v5, v13, v7
	v_fma_f32 v0, -v6, v5, v0
	v_div_fmas_f32 v0, v0, v7, v5
	v_div_fixup_f32 v0, v0, |v3|, |v4|
	v_fma_f32 v0, v0, v0, 1.0
	v_mul_f32_e32 v4, 0x4f800000, v0
	v_cmp_gt_f32_e32 vcc, s70, v0
	s_nop 1
	v_cndmask_b32_e32 v0, v0, v4, vcc
	v_sqrt_f32_e32 v4, v0
	s_nop 0
	v_add_u32_e32 v5, -1, v4
	v_fma_f32 v6, -v5, v4, v0
	v_cmp_ge_f32_e64 s[8:9], 0, v6
	v_add_u32_e32 v6, 1, v4
	s_nop 0
	v_cndmask_b32_e64 v5, v4, v5, s[8:9]
	v_fma_f32 v4, -v6, v4, v0
	v_cmp_lt_f32_e64 s[8:9], 0, v4
	s_nop 1
	v_cndmask_b32_e64 v4, v5, v6, s[8:9]
	v_mul_f32_e32 v5, 0x37800000, v4
	v_cndmask_b32_e32 v4, v4, v5, vcc
	v_cmp_class_f32_e32 vcc, v0, v10
	s_nop 1
	v_cndmask_b32_e32 v0, v4, v0, vcc
	v_mul_f32_e64 v0, |v3|, v0
.LBB3_103:                              ;   in Loop: Header=BB3_67 Depth=2
	v_add_f32_e32 v5, v12, v2
	v_cmp_gt_f32_e64 vcc, |v12|, |v2|
	s_nop 1
	v_cndmask_b32_e32 v4, v12, v2, vcc
	v_cndmask_b32_e32 v6, v2, v12, vcc
	v_cmp_ngt_f32_e32 vcc, 0, v5
	s_cbranch_vccz .LBB3_106
; %bb.104:                              ;   in Loop: Header=BB3_67 Depth=2
	v_cmp_nlt_f32_e32 vcc, 0, v5
	s_cbranch_vccz .LBB3_107
; %bb.105:                              ;   in Loop: Header=BB3_67 Depth=2
	v_pk_mul_f32 v[2:3], v[0:1], s[18:19] op_sel_hi:[0,1]
	s_cbranch_execz .LBB3_108
	s_branch .LBB3_109
.LBB3_106:                              ;   in Loop: Header=BB3_67 Depth=2
                                        ; implicit-def: $vgpr3
	s_branch .LBB3_110
.LBB3_107:                              ;   in Loop: Header=BB3_67 Depth=2
                                        ; implicit-def: $vgpr3
.LBB3_108:                              ;   in Loop: Header=BB3_67 Depth=2
	v_add_f32_e32 v2, v5, v0
	v_mul_f32_e32 v2, 0.5, v2
	v_cvt_f64_f32_e32 v[12:13], v6
	v_cvt_f64_f32_e32 v[14:15], v2
	v_div_scale_f64 v[16:17], s[8:9], v[14:15], v[14:15], v[12:13]
	v_rcp_f64_e32 v[18:19], v[16:17]
	s_nop 0
	v_fma_f64 v[20:21], -v[16:17], v[18:19], 1.0
	v_fmac_f64_e32 v[18:19], v[18:19], v[20:21]
	v_fma_f64 v[20:21], -v[16:17], v[18:19], 1.0
	v_fmac_f64_e32 v[18:19], v[18:19], v[20:21]
	v_div_scale_f64 v[20:21], vcc, v[12:13], v[14:15], v[12:13]
	v_mul_f64 v[22:23], v[20:21], v[18:19]
	v_fma_f64 v[16:17], -v[16:17], v[22:23], v[20:21]
	v_cvt_f64_f32_e32 v[20:21], v1
	v_div_scale_f64 v[24:25], s[8:9], v[14:15], v[14:15], v[20:21]
	v_rcp_f64_e32 v[26:27], v[24:25]
	v_div_fmas_f64 v[16:17], v[16:17], v[18:19], v[22:23]
	v_div_fixup_f64 v[12:13], v[16:17], v[14:15], v[12:13]
	v_cvt_f64_f32_e32 v[16:17], v4
	v_fma_f64 v[18:19], -v[24:25], v[26:27], 1.0
	v_fmac_f64_e32 v[26:27], v[26:27], v[18:19]
	v_fma_f64 v[18:19], -v[24:25], v[26:27], 1.0
	v_fmac_f64_e32 v[26:27], v[26:27], v[18:19]
	v_div_scale_f64 v[18:19], vcc, v[20:21], v[14:15], v[20:21]
	v_mul_f64 v[22:23], v[18:19], v[26:27]
	v_fma_f64 v[18:19], -v[24:25], v[22:23], v[18:19]
	s_nop 1
	v_div_fmas_f64 v[18:19], v[18:19], v[26:27], v[22:23]
	v_div_fixup_f64 v[14:15], v[18:19], v[14:15], v[20:21]
	v_mul_f64 v[14:15], v[14:15], v[20:21]
	v_fma_f64 v[12:13], v[12:13], v[16:17], -v[14:15]
	v_cvt_f32_f64_e32 v3, v[12:13]
.LBB3_109:                              ;   in Loop: Header=BB3_67 Depth=2
	s_cbranch_execnz .LBB3_111
.LBB3_110:                              ;   in Loop: Header=BB3_67 Depth=2
	v_sub_f32_e32 v0, v5, v0
	v_mul_f32_e32 v2, 0.5, v0
	v_cvt_f64_f32_e32 v[6:7], v6
	v_cvt_f64_f32_e32 v[12:13], v2
	v_div_scale_f64 v[14:15], s[8:9], v[12:13], v[12:13], v[6:7]
	v_rcp_f64_e32 v[16:17], v[14:15]
	v_cvt_f64_f32_e32 v[0:1], v1
	v_cvt_f64_f32_e32 v[4:5], v4
	v_fma_f64 v[18:19], -v[14:15], v[16:17], 1.0
	v_fmac_f64_e32 v[16:17], v[16:17], v[18:19]
	v_fma_f64 v[18:19], -v[14:15], v[16:17], 1.0
	v_fmac_f64_e32 v[16:17], v[16:17], v[18:19]
	v_div_scale_f64 v[18:19], vcc, v[6:7], v[12:13], v[6:7]
	v_mul_f64 v[20:21], v[18:19], v[16:17]
	v_fma_f64 v[14:15], -v[14:15], v[20:21], v[18:19]
	v_div_scale_f64 v[18:19], s[8:9], v[12:13], v[12:13], v[0:1]
	v_rcp_f64_e32 v[22:23], v[18:19]
	v_div_fmas_f64 v[14:15], v[14:15], v[16:17], v[20:21]
	v_div_fixup_f64 v[6:7], v[14:15], v[12:13], v[6:7]
	v_fma_f64 v[14:15], -v[18:19], v[22:23], 1.0
	v_fmac_f64_e32 v[22:23], v[22:23], v[14:15]
	v_fma_f64 v[14:15], -v[18:19], v[22:23], 1.0
	v_fmac_f64_e32 v[22:23], v[22:23], v[14:15]
	v_div_scale_f64 v[14:15], vcc, v[0:1], v[12:13], v[0:1]
	v_mul_f64 v[16:17], v[14:15], v[22:23]
	v_fma_f64 v[14:15], -v[18:19], v[16:17], v[14:15]
	s_nop 1
	v_div_fmas_f64 v[14:15], v[14:15], v[22:23], v[16:17]
	v_div_fixup_f64 v[12:13], v[14:15], v[12:13], v[0:1]
	v_mul_f64 v[0:1], v[12:13], v[0:1]
	v_fma_f64 v[0:1], v[6:7], v[4:5], -v[0:1]
	v_cvt_f32_f64_e32 v3, v[0:1]
.LBB3_111:                              ;   in Loop: Header=BB3_67 Depth=2
	global_store_dword v9, v2, s[40:41]
	global_store_dword v9, v3, s[42:43]
	global_store_dword v9, v9, s[44:45]
	s_add_i32 s36, s36, 2
.LBB3_112:                              ;   in Loop: Header=BB3_67 Depth=2
	s_cbranch_execz .LBB3_66
.LBB3_113:                              ;   in Loop: Header=BB3_67 Depth=2
	s_cmp_gt_i32 s36, s25
	s_cselect_b64 s[8:9], -1, 0
	s_cmp_ge_i32 s27, s20
	s_cselect_b64 s[38:39], -1, 0
	s_or_b64 s[38:39], s[8:9], s[38:39]
	s_branch .LBB3_66
.LBB3_114:                              ;   in Loop: Header=BB3_115 Depth=2
	s_andn2_b64 vcc, exec, s[8:9]
	s_cbranch_vccz .LBB3_56
.LBB3_115:                              ;   Parent Loop BB3_3 Depth=1
                                        ; =>  This Loop Header: Depth=2
                                        ;       Child Loop BB3_117 Depth 3
                                        ;       Child Loop BB3_129 Depth 3
	s_ashr_i32 s35, s34, 31
	s_min_i32 s38, s25, s34
	s_lshl_b64 s[6:7], s[34:35], 2
	s_add_u32 s36, s63, s6
	s_addc_u32 s37, s64, s7
	s_add_u32 s8, s67, s6
	s_addc_u32 s9, s68, s7
	s_mov_b32 s27, s34
	s_mov_b64 s[40:41], -1
	s_cmp_le_i32 s27, s25
	s_mov_b64 s[42:43], -1
                                        ; implicit-def: $sgpr35
	s_cbranch_scc1 .LBB3_117
.LBB3_116:                              ;   in Loop: Header=BB3_115 Depth=2
	global_load_dwordx2 v[0:1], v9, s[36:37] offset:-4
	global_load_dword v2, v9, s[8:9] offset:-8
	s_add_i32 s35, s27, -1
	s_add_u32 s36, s36, -4
	s_addc_u32 s37, s37, -1
	s_add_u32 s8, s8, -4
	s_mov_b64 s[40:41], 0
	s_addc_u32 s9, s9, -1
	s_waitcnt vmcnt(1)
	v_mul_f32_e32 v0, v1, v0
	v_mul_f32_e64 v0, v8, |v0|
	s_waitcnt vmcnt(0)
	v_cmp_le_f32_e64 s[42:43], |v2|, v0
.LBB3_117:                              ;   Parent Loop BB3_3 Depth=1
                                        ;     Parent Loop BB3_115 Depth=2
                                        ; =>    This Inner Loop Header: Depth=3
	s_andn2_b64 vcc, exec, s[42:43]
	s_cbranch_vccz .LBB3_119
; %bb.118:                              ;   in Loop: Header=BB3_117 Depth=3
	s_mov_b32 s27, s35
	s_mov_b64 s[40:41], -1
	s_cmp_le_i32 s27, s25
	s_mov_b64 s[42:43], -1
                                        ; implicit-def: $sgpr35
	s_cbranch_scc0 .LBB3_116
	s_branch .LBB3_117
.LBB3_119:                              ;   in Loop: Header=BB3_115 Depth=2
	s_andn2_b64 vcc, exec, s[40:41]
	s_cbranch_vccz .LBB3_121
; %bb.120:                              ;   in Loop: Header=BB3_115 Depth=2
	s_mov_b32 s38, s27
	global_store_dword v9, v9, s[8:9] offset:-4
.LBB3_121:                              ;   in Loop: Header=BB3_115 Depth=2
	s_add_i32 s27, s34, -1
	s_cmp_eq_u32 s38, s34
	s_mov_b64 s[8:9], -1
	s_cbranch_scc1 .LBB3_137
; %bb.122:                              ;   in Loop: Header=BB3_115 Depth=2
	s_add_u32 s36, s56, s6
	s_addc_u32 s37, s57, s7
	global_load_dword v12, v9, s[36:37]
	s_cmp_lg_u32 s38, s27
	s_cbranch_scc0 .LBB3_138
; %bb.123:                              ;   in Loop: Header=BB3_115 Depth=2
	s_mov_b64 s[40:41], 0
	s_cmp_lg_u32 s73, s20
	s_mov_b32 s27, s20
	s_mov_b64 s[42:43], 0
	s_cbranch_scc0 .LBB3_139
; %bb.124:                              ;   in Loop: Header=BB3_115 Depth=2
	s_add_u32 s42, s14, s6
	s_addc_u32 s43, s15, s7
	global_load_dword v0, v9, s[42:43] offset:-4
	s_ashr_i32 s39, s38, 31
	s_lshl_b64 s[46:47], s[38:39], 2
	s_add_u32 s44, s56, s46
	s_addc_u32 s45, s57, s47
	global_load_dword v1, v9, s[44:45]
	global_load_dword v2, v9, s[36:37] offset:-4
	s_cmp_ge_i32 s38, s34
	s_waitcnt vmcnt(2)
	v_mul_f32_e32 v3, 0x4f800000, v0
	v_cmp_gt_f32_e32 vcc, s70, v0
	s_waitcnt vmcnt(0)
	v_sub_f32_e32 v2, v2, v12
	v_cndmask_b32_e32 v0, v0, v3, vcc
	v_sqrt_f32_e32 v3, v0
	s_nop 0
	v_add_u32_e32 v4, -1, v3
	v_add_u32_e32 v5, 1, v3
	v_fma_f32 v6, -v4, v3, v0
	v_fma_f32 v7, -v5, v3, v0
	v_cmp_ge_f32_e64 s[6:7], 0, v6
	s_nop 1
	v_cndmask_b32_e64 v3, v3, v4, s[6:7]
	v_cmp_lt_f32_e64 s[6:7], 0, v7
	s_nop 1
	v_cndmask_b32_e64 v3, v3, v5, s[6:7]
	v_mul_f32_e32 v4, 0x37800000, v3
	v_cndmask_b32_e32 v3, v3, v4, vcc
	v_cmp_class_f32_e32 vcc, v0, v10
	s_nop 1
	v_cndmask_b32_e32 v0, v3, v0, vcc
	v_add_f32_e32 v3, v0, v0
	v_div_scale_f32 v4, s[6:7], v3, v3, v2
	v_rcp_f32_e32 v5, v4
	v_div_scale_f32 v6, vcc, v2, v3, v2
	v_fma_f32 v7, -v4, v5, 1.0
	v_fmac_f32_e32 v5, v7, v5
	v_mul_f32_e32 v7, v6, v5
	v_fma_f32 v13, -v4, v7, v6
	v_fmac_f32_e32 v7, v13, v5
	v_fma_f32 v4, -v4, v7, v6
	v_div_fmas_f32 v4, v4, v5, v7
	v_div_fixup_f32 v2, v4, v3, v2
	v_fma_f32 v3, v2, v2, 1.0
	v_mul_f32_e32 v4, 0x4f800000, v3
	v_cmp_gt_f32_e32 vcc, s70, v3
	s_nop 1
	v_cndmask_b32_e32 v3, v3, v4, vcc
	v_sqrt_f32_e32 v4, v3
	s_nop 0
	v_add_u32_e32 v5, -1, v4
	v_add_u32_e32 v6, 1, v4
	v_fma_f32 v7, -v5, v4, v3
	v_fma_f32 v13, -v6, v4, v3
	v_cmp_ge_f32_e64 s[6:7], 0, v7
	s_nop 1
	v_cndmask_b32_e64 v4, v4, v5, s[6:7]
	v_cmp_lt_f32_e64 s[6:7], 0, v13
	s_nop 1
	v_cndmask_b32_e64 v4, v4, v6, s[6:7]
	v_mul_f32_e32 v5, 0x37800000, v4
	v_cndmask_b32_e32 v4, v4, v5, vcc
	v_cmp_class_f32_e32 vcc, v3, v10
	s_nop 1
	v_cndmask_b32_e32 v3, v4, v3, vcc
	v_cmp_nle_f32_e32 vcc, 0, v2
	s_nop 1
	v_cndmask_b32_e64 v3, |v3|, -|v3|, vcc
	v_add_f32_e32 v2, v2, v3
	v_div_scale_f32 v3, s[6:7], v2, v2, v0
	v_rcp_f32_e32 v4, v3
	v_div_scale_f32 v5, vcc, v0, v2, v0
	v_fma_f32 v6, -v3, v4, 1.0
	v_fmac_f32_e32 v4, v6, v4
	v_mul_f32_e32 v6, v5, v4
	v_fma_f32 v7, -v3, v6, v5
	v_fmac_f32_e32 v6, v7, v4
	v_fma_f32 v3, -v3, v6, v5
	v_div_fmas_f32 v3, v3, v4, v6
	v_div_fixup_f32 v0, v3, v2, v0
	v_sub_f32_e32 v13, v12, v0
	v_sub_f32_e32 v7, v1, v13
	v_mul_f32_e32 v0, v7, v7
	v_mov_b32_e32 v1, 0
	s_cbranch_scc1 .LBB3_145
; %bb.125:                              ;   in Loop: Header=BB3_115 Depth=2
	s_add_u32 s6, s14, s46
	s_addc_u32 s7, s15, s47
	global_load_dword v14, v9, s[6:7]
	global_load_dword v15, v9, s[44:45] offset:4
	s_waitcnt vmcnt(1)
	v_add_f32_e32 v2, v0, v14
	v_div_scale_f32 v1, s[6:7], v2, v2, v14
	v_div_scale_f32 v4, s[6:7], v2, v2, v0
	v_rcp_f32_e32 v5, v1
	v_rcp_f32_e32 v16, v4
	v_div_scale_f32 v3, vcc, v14, v2, v14
	v_fma_f32 v18, -v1, v5, 1.0
	v_fma_f32 v19, -v4, v16, 1.0
	v_fmac_f32_e32 v5, v18, v5
	v_div_scale_f32 v17, s[6:7], v0, v2, v0
	v_fmac_f32_e32 v16, v19, v16
	v_mul_f32_e32 v18, v3, v5
	v_mul_f32_e32 v19, v17, v16
	v_fma_f32 v20, -v1, v18, v3
	v_fma_f32 v21, -v4, v19, v17
	v_fmac_f32_e32 v18, v20, v5
	v_fmac_f32_e32 v19, v21, v16
	v_fma_f32 v1, -v1, v18, v3
	v_fma_f32 v3, -v4, v19, v17
	v_div_fmas_f32 v1, v1, v5, v18
	s_mov_b64 vcc, s[6:7]
	v_div_fixup_f32 v1, v1, v2, v14
	v_div_fmas_f32 v3, v3, v16, v19
	s_waitcnt vmcnt(0)
	v_sub_f32_e32 v6, v15, v13
	v_div_fixup_f32 v2, v3, v2, v0
	v_mov_b32_e32 v3, v1
	v_mul_f32_e32 v0, v7, v1
	v_pk_fma_f32 v[4:5], v[6:7], v[2:3], v[0:1] op_sel_hi:[1,1,0] neg_lo:[0,0,1] neg_hi:[0,0,1]
	v_cmp_eq_f32_e32 vcc, 0, v2
	v_sub_f32_e32 v0, v15, v4
	v_add_f32_e32 v0, v7, v0
	global_store_dword v9, v0, s[44:45]
	s_cbranch_vccnz .LBB3_127
; %bb.126:                              ;   in Loop: Header=BB3_115 Depth=2
	v_mul_f32_e32 v0, v4, v4
	v_div_scale_f32 v3, s[6:7], v2, v2, v0
	v_rcp_f32_e32 v5, v3
	v_div_scale_f32 v6, vcc, v0, v2, v0
	v_fma_f32 v7, -v3, v5, 1.0
	v_fmac_f32_e32 v5, v7, v5
	v_mul_f32_e32 v7, v6, v5
	v_fma_f32 v14, -v3, v7, v6
	v_fmac_f32_e32 v7, v14, v5
	v_fma_f32 v3, -v3, v7, v6
	v_div_fmas_f32 v3, v3, v5, v7
	v_div_fixup_f32 v14, v3, v2, v0
.LBB3_127:                              ;   in Loop: Header=BB3_115 Depth=2
	s_add_i32 s6, s38, 1
	s_cmp_ge_i32 s6, s34
	s_cbranch_scc1 .LBB3_144
; %bb.128:                              ;   in Loop: Header=BB3_115 Depth=2
	s_ashr_i32 s7, s6, 31
	s_lshl_b64 s[6:7], s[6:7], 2
	s_add_u32 s44, s59, s6
	s_addc_u32 s45, s60, s7
	s_add_u32 s46, s65, s6
	s_addc_u32 s47, s66, s7
	s_mov_b32 s27, 1
.LBB3_129:                              ;   Parent Loop BB3_3 Depth=1
                                        ;     Parent Loop BB3_115 Depth=2
                                        ; =>    This Inner Loop Header: Depth=3
	global_load_dword v3, v9, s[44:45]
	v_mov_b32_e32 v7, v4
	s_cmp_eq_u32 s27, 0
	s_waitcnt vmcnt(0)
	v_add_f32_e32 v0, v14, v3
	s_cbranch_scc1 .LBB3_131
; %bb.130:                              ;   in Loop: Header=BB3_129 Depth=3
	v_mul_f32_e32 v1, v1, v0
	global_store_dword v9, v1, s[44:45] offset:-4
.LBB3_131:                              ;   in Loop: Header=BB3_129 Depth=3
	global_load_dword v15, v9, s[46:47]
	v_div_scale_f32 v1, s[6:7], v0, v0, v3
	v_div_scale_f32 v5, s[6:7], v0, v0, v14
	v_rcp_f32_e32 v6, v1
	v_rcp_f32_e32 v16, v5
	v_div_scale_f32 v4, vcc, v3, v0, v3
	v_fma_f32 v18, -v1, v6, 1.0
	v_fma_f32 v19, -v5, v16, 1.0
	v_fmac_f32_e32 v6, v18, v6
	v_div_scale_f32 v17, s[6:7], v14, v0, v14
	v_fmac_f32_e32 v16, v19, v16
	v_mul_f32_e32 v18, v4, v6
	v_mul_f32_e32 v19, v17, v16
	v_fma_f32 v20, -v1, v18, v4
	v_fma_f32 v21, -v5, v19, v17
	v_fmac_f32_e32 v18, v20, v6
	v_fmac_f32_e32 v19, v21, v16
	v_fma_f32 v1, -v1, v18, v4
	v_fma_f32 v4, -v5, v19, v17
	v_div_fmas_f32 v1, v1, v6, v18
	s_mov_b64 vcc, s[6:7]
	v_div_fixup_f32 v1, v1, v0, v3
	v_div_fmas_f32 v4, v4, v16, v19
	v_div_fixup_f32 v0, v4, v0, v14
	v_mul_f32_e32 v4, v7, v1
	v_cmp_eq_f32_e32 vcc, 0, v0
	s_and_b64 vcc, exec, vcc
	s_waitcnt vmcnt(0)
	v_sub_f32_e32 v6, v15, v13
	v_pk_fma_f32 v[4:5], v[6:7], v[0:1], v[4:5] op_sel_hi:[1,1,0] neg_lo:[0,0,1] neg_hi:[0,0,1]
	s_nop 0
	v_sub_f32_e32 v5, v15, v4
	v_add_f32_e32 v5, v7, v5
	global_store_dword v9, v5, s[46:47] offset:-4
	s_cbranch_vccz .LBB3_136
; %bb.132:                              ;   in Loop: Header=BB3_129 Depth=3
	v_mul_f32_e32 v14, v2, v3
	s_cbranch_execnz .LBB3_134
.LBB3_133:                              ;   in Loop: Header=BB3_129 Depth=3
	v_mul_f32_e32 v2, v4, v4
	v_div_scale_f32 v3, s[6:7], v0, v0, v2
	v_rcp_f32_e32 v5, v3
	v_div_scale_f32 v6, vcc, v2, v0, v2
	v_fma_f32 v7, -v3, v5, 1.0
	v_fmac_f32_e32 v5, v7, v5
	v_mul_f32_e32 v7, v6, v5
	v_fma_f32 v14, -v3, v7, v6
	v_fmac_f32_e32 v7, v14, v5
	v_fma_f32 v3, -v3, v7, v6
	v_div_fmas_f32 v3, v3, v5, v7
	v_div_fixup_f32 v14, v3, v0, v2
.LBB3_134:                              ;   in Loop: Header=BB3_129 Depth=3
	s_add_i32 s27, s27, 1
	s_add_i32 s6, s38, s27
	s_add_u32 s44, s44, 4
	s_addc_u32 s45, s45, 0
	s_add_u32 s46, s46, 4
	s_addc_u32 s47, s47, 0
	s_cmp_ge_i32 s6, s34
	s_cbranch_scc1 .LBB3_144
; %bb.135:                              ;   in Loop: Header=BB3_129 Depth=3
	v_mov_b32_e32 v2, v0
	s_branch .LBB3_129
.LBB3_136:                              ;   in Loop: Header=BB3_129 Depth=3
                                        ; implicit-def: $vgpr14
	s_branch .LBB3_133
.LBB3_137:                              ;   in Loop: Header=BB3_115 Depth=2
	s_mov_b32 s34, s27
	s_branch .LBB3_160
.LBB3_138:                              ;   in Loop: Header=BB3_115 Depth=2
	s_mov_b64 s[40:41], -1
	s_mov_b64 s[42:43], 0
                                        ; implicit-def: $sgpr27
.LBB3_139:                              ;   in Loop: Header=BB3_115 Depth=2
	s_and_b64 vcc, exec, s[40:41]
	s_cbranch_vccz .LBB3_146
.LBB3_140:                              ;   in Loop: Header=BB3_115 Depth=2
	s_ashr_i32 s39, s38, 31
	s_lshl_b64 s[6:7], s[38:39], 2
	s_add_u32 s38, s14, s6
	s_addc_u32 s39, s15, s7
	global_load_dword v0, v9, s[38:39]
	s_add_u32 s40, s56, s6
	s_addc_u32 s41, s57, s7
	global_load_dword v2, v9, s[40:41]
	s_waitcnt vmcnt(1)
	v_mul_f32_e32 v1, 0x4f800000, v0
	v_cmp_gt_f32_e32 vcc, s70, v0
	s_waitcnt vmcnt(0)
	v_sub_f32_e32 v3, v12, v2
	v_cndmask_b32_e32 v0, v0, v1, vcc
	v_sqrt_f32_e32 v1, v0
	s_nop 0
	v_add_u32_e32 v4, -1, v1
	v_add_u32_e32 v5, 1, v1
	v_fma_f32 v6, -v4, v1, v0
	v_fma_f32 v7, -v5, v1, v0
	v_cmp_ge_f32_e64 s[6:7], 0, v6
	s_nop 1
	v_cndmask_b32_e64 v1, v1, v4, s[6:7]
	v_cmp_lt_f32_e64 s[6:7], 0, v7
	s_nop 1
	v_cndmask_b32_e64 v1, v1, v5, s[6:7]
	v_mul_f32_e32 v4, 0x37800000, v1
	v_cndmask_b32_e32 v1, v1, v4, vcc
	v_cmp_class_f32_e32 vcc, v0, v10
	s_nop 1
	v_cndmask_b32_e32 v1, v1, v0, vcc
	v_add_f32_e32 v4, v1, v1
	v_cmp_ngt_f32_e64 s[6:7], |v3|, |v4|
	v_and_b32_e32 v5, 0x7fffffff, v4
	s_and_b64 vcc, exec, s[6:7]
	s_cbranch_vccz .LBB3_143
; %bb.141:                              ;   in Loop: Header=BB3_115 Depth=2
	v_cmp_nlt_f32_e64 s[6:7], |v3|, |v4|
	s_and_b64 vcc, exec, s[6:7]
	s_cbranch_vccz .LBB3_147
; %bb.142:                              ;   in Loop: Header=BB3_115 Depth=2
	v_cvt_f64_f32_e32 v[6:7], v5
	v_mul_f64 v[6:7], v[6:7], s[16:17]
	v_cvt_f32_f64_e32 v0, v[6:7]
	s_cbranch_execz .LBB3_148
	s_branch .LBB3_149
.LBB3_143:                              ;   in Loop: Header=BB3_115 Depth=2
                                        ; implicit-def: $vgpr0
	s_branch .LBB3_150
.LBB3_144:                              ;   in Loop: Header=BB3_115 Depth=2
	v_mov_b32_e32 v7, v4
	v_mov_b32_e32 v0, v14
.LBB3_145:                              ;   in Loop: Header=BB3_115 Depth=2
	v_mul_f32_e32 v0, v0, v1
	global_store_dword v9, v0, s[42:43] offset:-4
	v_add_f32_e32 v0, v13, v7
	s_add_i32 s27, s73, 1
	global_store_dword v9, v0, s[36:37]
	s_mov_b64 s[42:43], -1
	s_and_b64 vcc, exec, s[40:41]
	s_cbranch_vccnz .LBB3_140
.LBB3_146:                              ;   in Loop: Header=BB3_115 Depth=2
	s_mov_b32 s73, s27
	s_and_b64 vcc, exec, s[42:43]
	s_cbranch_vccz .LBB3_114
	s_branch .LBB3_161
.LBB3_147:                              ;   in Loop: Header=BB3_115 Depth=2
                                        ; implicit-def: $vgpr0
.LBB3_148:                              ;   in Loop: Header=BB3_115 Depth=2
	v_and_b32_e32 v0, 0x7fffffff, v3
	v_div_scale_f32 v6, s[6:7], v5, v5, v0
	v_rcp_f32_e32 v7, v6
	v_div_scale_f32 v0, vcc, v0, v5, v0
	v_fma_f32 v13, -v6, v7, 1.0
	v_fmac_f32_e32 v7, v13, v7
	v_mul_f32_e32 v13, v0, v7
	v_fma_f32 v14, -v6, v13, v0
	v_fmac_f32_e32 v13, v14, v7
	v_fma_f32 v0, -v6, v13, v0
	v_div_fmas_f32 v0, v0, v7, v13
	v_div_fixup_f32 v0, v0, |v4|, |v3|
	v_fma_f32 v0, v0, v0, 1.0
	v_mul_f32_e32 v6, 0x4f800000, v0
	v_cmp_gt_f32_e32 vcc, s70, v0
	s_nop 1
	v_cndmask_b32_e32 v0, v0, v6, vcc
	v_sqrt_f32_e32 v6, v0
	s_nop 0
	v_add_u32_e32 v7, -1, v6
	v_fma_f32 v13, -v7, v6, v0
	v_cmp_ge_f32_e64 s[6:7], 0, v13
	v_add_u32_e32 v13, 1, v6
	s_nop 0
	v_cndmask_b32_e64 v7, v6, v7, s[6:7]
	v_fma_f32 v6, -v13, v6, v0
	v_cmp_lt_f32_e64 s[6:7], 0, v6
	s_nop 1
	v_cndmask_b32_e64 v6, v7, v13, s[6:7]
	v_mul_f32_e32 v7, 0x37800000, v6
	v_cndmask_b32_e32 v6, v6, v7, vcc
	v_cmp_class_f32_e32 vcc, v0, v10
	s_nop 1
	v_cndmask_b32_e32 v0, v6, v0, vcc
	v_mul_f32_e64 v0, |v4|, v0
.LBB3_149:                              ;   in Loop: Header=BB3_115 Depth=2
	s_cbranch_execnz .LBB3_151
.LBB3_150:                              ;   in Loop: Header=BB3_115 Depth=2
	v_and_b32_e32 v0, 0x7fffffff, v3
	v_div_scale_f32 v6, s[6:7], v0, v0, v5
	v_rcp_f32_e32 v7, v6
	v_div_scale_f32 v0, vcc, v5, v0, v5
	v_fma_f32 v5, -v6, v7, 1.0
	v_fmac_f32_e32 v7, v5, v7
	v_mul_f32_e32 v5, v0, v7
	v_fma_f32 v13, -v6, v5, v0
	v_fmac_f32_e32 v5, v13, v7
	v_fma_f32 v0, -v6, v5, v0
	v_div_fmas_f32 v0, v0, v7, v5
	v_div_fixup_f32 v0, v0, |v3|, |v4|
	v_fma_f32 v0, v0, v0, 1.0
	v_mul_f32_e32 v4, 0x4f800000, v0
	v_cmp_gt_f32_e32 vcc, s70, v0
	s_nop 1
	v_cndmask_b32_e32 v0, v0, v4, vcc
	v_sqrt_f32_e32 v4, v0
	s_nop 0
	v_add_u32_e32 v5, -1, v4
	v_fma_f32 v6, -v5, v4, v0
	v_cmp_ge_f32_e64 s[6:7], 0, v6
	v_add_u32_e32 v6, 1, v4
	s_nop 0
	v_cndmask_b32_e64 v5, v4, v5, s[6:7]
	v_fma_f32 v4, -v6, v4, v0
	v_cmp_lt_f32_e64 s[6:7], 0, v4
	s_nop 1
	v_cndmask_b32_e64 v4, v5, v6, s[6:7]
	v_mul_f32_e32 v5, 0x37800000, v4
	v_cndmask_b32_e32 v4, v4, v5, vcc
	v_cmp_class_f32_e32 vcc, v0, v10
	s_nop 1
	v_cndmask_b32_e32 v0, v4, v0, vcc
	v_mul_f32_e64 v0, |v3|, v0
.LBB3_151:                              ;   in Loop: Header=BB3_115 Depth=2
	v_add_f32_e32 v5, v12, v2
	v_cmp_gt_f32_e64 vcc, |v12|, |v2|
	s_nop 1
	v_cndmask_b32_e32 v4, v12, v2, vcc
	v_cndmask_b32_e32 v6, v2, v12, vcc
	v_cmp_ngt_f32_e32 vcc, 0, v5
	s_cbranch_vccz .LBB3_154
; %bb.152:                              ;   in Loop: Header=BB3_115 Depth=2
	v_cmp_nlt_f32_e32 vcc, 0, v5
	s_cbranch_vccz .LBB3_155
; %bb.153:                              ;   in Loop: Header=BB3_115 Depth=2
	v_pk_mul_f32 v[2:3], v[0:1], s[18:19] op_sel_hi:[0,1]
	s_cbranch_execz .LBB3_156
	s_branch .LBB3_157
.LBB3_154:                              ;   in Loop: Header=BB3_115 Depth=2
                                        ; implicit-def: $vgpr3
	s_branch .LBB3_158
.LBB3_155:                              ;   in Loop: Header=BB3_115 Depth=2
                                        ; implicit-def: $vgpr3
.LBB3_156:                              ;   in Loop: Header=BB3_115 Depth=2
	v_add_f32_e32 v2, v5, v0
	v_mul_f32_e32 v2, 0.5, v2
	v_cvt_f64_f32_e32 v[12:13], v6
	v_cvt_f64_f32_e32 v[14:15], v2
	v_div_scale_f64 v[16:17], s[6:7], v[14:15], v[14:15], v[12:13]
	v_rcp_f64_e32 v[18:19], v[16:17]
	s_nop 0
	v_fma_f64 v[20:21], -v[16:17], v[18:19], 1.0
	v_fmac_f64_e32 v[18:19], v[18:19], v[20:21]
	v_fma_f64 v[20:21], -v[16:17], v[18:19], 1.0
	v_fmac_f64_e32 v[18:19], v[18:19], v[20:21]
	v_div_scale_f64 v[20:21], vcc, v[12:13], v[14:15], v[12:13]
	v_mul_f64 v[22:23], v[20:21], v[18:19]
	v_fma_f64 v[16:17], -v[16:17], v[22:23], v[20:21]
	v_cvt_f64_f32_e32 v[20:21], v1
	v_div_scale_f64 v[24:25], s[6:7], v[14:15], v[14:15], v[20:21]
	v_rcp_f64_e32 v[26:27], v[24:25]
	v_div_fmas_f64 v[16:17], v[16:17], v[18:19], v[22:23]
	v_div_fixup_f64 v[12:13], v[16:17], v[14:15], v[12:13]
	v_cvt_f64_f32_e32 v[16:17], v4
	v_fma_f64 v[18:19], -v[24:25], v[26:27], 1.0
	v_fmac_f64_e32 v[26:27], v[26:27], v[18:19]
	v_fma_f64 v[18:19], -v[24:25], v[26:27], 1.0
	v_fmac_f64_e32 v[26:27], v[26:27], v[18:19]
	v_div_scale_f64 v[18:19], vcc, v[20:21], v[14:15], v[20:21]
	v_mul_f64 v[22:23], v[18:19], v[26:27]
	v_fma_f64 v[18:19], -v[24:25], v[22:23], v[18:19]
	s_nop 1
	v_div_fmas_f64 v[18:19], v[18:19], v[26:27], v[22:23]
	v_div_fixup_f64 v[14:15], v[18:19], v[14:15], v[20:21]
	v_mul_f64 v[14:15], v[14:15], v[20:21]
	v_fma_f64 v[12:13], v[12:13], v[16:17], -v[14:15]
	v_cvt_f32_f64_e32 v3, v[12:13]
.LBB3_157:                              ;   in Loop: Header=BB3_115 Depth=2
	s_cbranch_execnz .LBB3_159
.LBB3_158:                              ;   in Loop: Header=BB3_115 Depth=2
	v_sub_f32_e32 v0, v5, v0
	v_mul_f32_e32 v2, 0.5, v0
	v_cvt_f64_f32_e32 v[6:7], v6
	v_cvt_f64_f32_e32 v[12:13], v2
	v_div_scale_f64 v[14:15], s[6:7], v[12:13], v[12:13], v[6:7]
	v_rcp_f64_e32 v[16:17], v[14:15]
	v_cvt_f64_f32_e32 v[0:1], v1
	v_cvt_f64_f32_e32 v[4:5], v4
	v_fma_f64 v[18:19], -v[14:15], v[16:17], 1.0
	v_fmac_f64_e32 v[16:17], v[16:17], v[18:19]
	v_fma_f64 v[18:19], -v[14:15], v[16:17], 1.0
	v_fmac_f64_e32 v[16:17], v[16:17], v[18:19]
	v_div_scale_f64 v[18:19], vcc, v[6:7], v[12:13], v[6:7]
	v_mul_f64 v[20:21], v[18:19], v[16:17]
	v_fma_f64 v[14:15], -v[14:15], v[20:21], v[18:19]
	v_div_scale_f64 v[18:19], s[6:7], v[12:13], v[12:13], v[0:1]
	v_rcp_f64_e32 v[22:23], v[18:19]
	v_div_fmas_f64 v[14:15], v[14:15], v[16:17], v[20:21]
	v_div_fixup_f64 v[6:7], v[14:15], v[12:13], v[6:7]
	v_fma_f64 v[14:15], -v[18:19], v[22:23], 1.0
	v_fmac_f64_e32 v[22:23], v[22:23], v[14:15]
	v_fma_f64 v[14:15], -v[18:19], v[22:23], 1.0
	v_fmac_f64_e32 v[22:23], v[22:23], v[14:15]
	v_div_scale_f64 v[14:15], vcc, v[0:1], v[12:13], v[0:1]
	v_mul_f64 v[16:17], v[14:15], v[22:23]
	v_fma_f64 v[14:15], -v[18:19], v[16:17], v[14:15]
	s_nop 1
	v_div_fmas_f64 v[14:15], v[14:15], v[22:23], v[16:17]
	v_div_fixup_f64 v[12:13], v[14:15], v[12:13], v[0:1]
	v_mul_f64 v[0:1], v[12:13], v[0:1]
	v_fma_f64 v[0:1], v[6:7], v[4:5], -v[0:1]
	v_cvt_f32_f64_e32 v3, v[0:1]
.LBB3_159:                              ;   in Loop: Header=BB3_115 Depth=2
	global_store_dword v9, v2, s[36:37]
	global_store_dword v9, v3, s[40:41]
	;; [unrolled: 1-line block ×3, first 2 shown]
	s_add_i32 s34, s34, -2
.LBB3_160:                              ;   in Loop: Header=BB3_115 Depth=2
	s_cbranch_execz .LBB3_114
.LBB3_161:                              ;   in Loop: Header=BB3_115 Depth=2
	s_cmp_lt_i32 s34, s25
	s_cselect_b64 s[6:7], -1, 0
	s_cmp_ge_i32 s73, s20
	s_cselect_b64 s[8:9], -1, 0
	s_or_b64 s[8:9], s[6:7], s[8:9]
	s_branch .LBB3_114
.LBB3_162:
	s_cmp_lt_i32 s33, 2
	s_cbranch_scc1 .LBB3_173
; %bb.163:
	s_load_dwordx2 s[0:1], s[0:1], 0x28
	s_lshl_b64 s[4:5], s[2:3], 2
	s_mov_b32 s2, 1
	v_mov_b32_e32 v0, 0
	s_waitcnt lgkmcnt(0)
	s_add_u32 s0, s0, s4
	s_addc_u32 s1, s1, s5
	s_branch .LBB3_165
.LBB3_164:                              ;   in Loop: Header=BB3_165 Depth=1
	s_add_i32 s2, s2, 1
	s_add_u32 s14, s14, 4
	s_addc_u32 s15, s15, 0
	s_cmp_lg_u32 s33, s2
	s_cbranch_scc0 .LBB3_167
.LBB3_165:                              ; =>This Inner Loop Header: Depth=1
	global_load_dword v1, v0, s[14:15]
	s_waitcnt vmcnt(0)
	v_cmp_eq_f32_e32 vcc, 0, v1
	s_cbranch_vccnz .LBB3_164
; %bb.166:                              ;   in Loop: Header=BB3_165 Depth=1
	global_load_dword v1, v0, s[0:1]
	s_waitcnt vmcnt(0)
	v_add_u32_e32 v1, 1, v1
	global_store_dword v0, v1, s[0:1]
	s_branch .LBB3_164
.LBB3_167:
	s_add_u32 s0, s12, s10
	s_addc_u32 s1, s13, s11
	s_add_u32 s0, s0, 4
	s_addc_u32 s1, s1, 0
	s_mov_b32 s2, 1
	v_mov_b32_e32 v0, 0
	s_branch .LBB3_169
.LBB3_168:                              ;   in Loop: Header=BB3_169 Depth=1
	s_add_i32 s2, s2, 1
	s_add_u32 s0, s0, 4
	s_addc_u32 s1, s1, 0
	s_cmp_lg_u32 s2, s33
	s_cbranch_scc0 .LBB3_173
.LBB3_169:                              ; =>This Loop Header: Depth=1
                                        ;     Child Loop BB3_170 Depth 2
	s_ashr_i32 s3, s2, 31
	s_add_i32 s7, s2, -1
	s_lshl_b64 s[4:5], s[2:3], 2
	s_add_u32 s4, s56, s4
	s_addc_u32 s5, s57, s5
	global_load_dword v1, v0, s[4:5] offset:-4
	s_mov_b64 s[8:9], s[0:1]
	s_mov_b32 s3, s2
	s_mov_b32 s6, s7
	s_waitcnt vmcnt(0)
	v_mov_b32_e32 v2, v1
.LBB3_170:                              ;   Parent Loop BB3_169 Depth=1
                                        ; =>  This Inner Loop Header: Depth=2
	global_load_dword v3, v0, s[8:9]
	s_waitcnt vmcnt(0)
	v_cmp_lt_f32_e32 vcc, v3, v2
	s_and_b64 s[10:11], vcc, exec
	s_cselect_b32 s6, s3, s6
	s_add_i32 s3, s3, 1
	s_add_u32 s8, s8, 4
	s_addc_u32 s9, s9, 0
	v_cndmask_b32_e32 v2, v2, v3, vcc
	s_cmp_eq_u32 s33, s3
	s_cbranch_scc0 .LBB3_170
; %bb.171:                              ;   in Loop: Header=BB3_169 Depth=1
	s_cmp_lg_u32 s6, s7
	s_cbranch_scc0 .LBB3_168
; %bb.172:                              ;   in Loop: Header=BB3_169 Depth=1
	s_ashr_i32 s7, s6, 31
	s_lshl_b64 s[6:7], s[6:7], 2
	s_add_u32 s6, s56, s6
	s_addc_u32 s7, s57, s7
	global_store_dword v0, v1, s[6:7]
	global_store_dword v0, v2, s[4:5] offset:-4
	s_branch .LBB3_168
.LBB3_173:
	s_endpgm
	.section	.rodata,"a",@progbits
	.p2align	6, 0x0
	.amdhsa_kernel _ZN9rocsolver6v33100L12sterf_kernelIfEEviPT_lS3_lPiS4_iS2_S2_S2_
		.amdhsa_group_segment_fixed_size 0
		.amdhsa_private_segment_fixed_size 0
		.amdhsa_kernarg_size 72
		.amdhsa_user_sgpr_count 2
		.amdhsa_user_sgpr_dispatch_ptr 0
		.amdhsa_user_sgpr_queue_ptr 0
		.amdhsa_user_sgpr_kernarg_segment_ptr 1
		.amdhsa_user_sgpr_dispatch_id 0
		.amdhsa_user_sgpr_kernarg_preload_length 0
		.amdhsa_user_sgpr_kernarg_preload_offset 0
		.amdhsa_user_sgpr_private_segment_size 0
		.amdhsa_uses_dynamic_stack 0
		.amdhsa_enable_private_segment 0
		.amdhsa_system_sgpr_workgroup_id_x 1
		.amdhsa_system_sgpr_workgroup_id_y 0
		.amdhsa_system_sgpr_workgroup_id_z 0
		.amdhsa_system_sgpr_workgroup_info 0
		.amdhsa_system_vgpr_workitem_id 0
		.amdhsa_next_free_vgpr 28
		.amdhsa_next_free_sgpr 74
		.amdhsa_accum_offset 28
		.amdhsa_reserve_vcc 1
		.amdhsa_float_round_mode_32 0
		.amdhsa_float_round_mode_16_64 0
		.amdhsa_float_denorm_mode_32 3
		.amdhsa_float_denorm_mode_16_64 3
		.amdhsa_dx10_clamp 1
		.amdhsa_ieee_mode 1
		.amdhsa_fp16_overflow 0
		.amdhsa_tg_split 0
		.amdhsa_exception_fp_ieee_invalid_op 0
		.amdhsa_exception_fp_denorm_src 0
		.amdhsa_exception_fp_ieee_div_zero 0
		.amdhsa_exception_fp_ieee_overflow 0
		.amdhsa_exception_fp_ieee_underflow 0
		.amdhsa_exception_fp_ieee_inexact 0
		.amdhsa_exception_int_div_zero 0
	.end_amdhsa_kernel
	.section	.text._ZN9rocsolver6v33100L12sterf_kernelIfEEviPT_lS3_lPiS4_iS2_S2_S2_,"axG",@progbits,_ZN9rocsolver6v33100L12sterf_kernelIfEEviPT_lS3_lPiS4_iS2_S2_S2_,comdat
.Lfunc_end3:
	.size	_ZN9rocsolver6v33100L12sterf_kernelIfEEviPT_lS3_lPiS4_iS2_S2_S2_, .Lfunc_end3-_ZN9rocsolver6v33100L12sterf_kernelIfEEviPT_lS3_lPiS4_iS2_S2_S2_
                                        ; -- End function
	.set _ZN9rocsolver6v33100L12sterf_kernelIfEEviPT_lS3_lPiS4_iS2_S2_S2_.num_vgpr, 28
	.set _ZN9rocsolver6v33100L12sterf_kernelIfEEviPT_lS3_lPiS4_iS2_S2_S2_.num_agpr, 0
	.set _ZN9rocsolver6v33100L12sterf_kernelIfEEviPT_lS3_lPiS4_iS2_S2_S2_.numbered_sgpr, 74
	.set _ZN9rocsolver6v33100L12sterf_kernelIfEEviPT_lS3_lPiS4_iS2_S2_S2_.num_named_barrier, 0
	.set _ZN9rocsolver6v33100L12sterf_kernelIfEEviPT_lS3_lPiS4_iS2_S2_S2_.private_seg_size, 0
	.set _ZN9rocsolver6v33100L12sterf_kernelIfEEviPT_lS3_lPiS4_iS2_S2_S2_.uses_vcc, 1
	.set _ZN9rocsolver6v33100L12sterf_kernelIfEEviPT_lS3_lPiS4_iS2_S2_S2_.uses_flat_scratch, 0
	.set _ZN9rocsolver6v33100L12sterf_kernelIfEEviPT_lS3_lPiS4_iS2_S2_S2_.has_dyn_sized_stack, 0
	.set _ZN9rocsolver6v33100L12sterf_kernelIfEEviPT_lS3_lPiS4_iS2_S2_S2_.has_recursion, 0
	.set _ZN9rocsolver6v33100L12sterf_kernelIfEEviPT_lS3_lPiS4_iS2_S2_S2_.has_indirect_call, 0
	.section	.AMDGPU.csdata,"",@progbits
; Kernel info:
; codeLenInByte = 8236
; TotalNumSgprs: 80
; NumVgprs: 28
; NumAgprs: 0
; TotalNumVgprs: 28
; ScratchSize: 0
; MemoryBound: 0
; FloatMode: 240
; IeeeMode: 1
; LDSByteSize: 0 bytes/workgroup (compile time only)
; SGPRBlocks: 9
; VGPRBlocks: 3
; NumSGPRsForWavesPerEU: 80
; NumVGPRsForWavesPerEU: 28
; AccumOffset: 28
; Occupancy: 8
; WaveLimiterHint : 0
; COMPUTE_PGM_RSRC2:SCRATCH_EN: 0
; COMPUTE_PGM_RSRC2:USER_SGPR: 2
; COMPUTE_PGM_RSRC2:TRAP_HANDLER: 0
; COMPUTE_PGM_RSRC2:TGID_X_EN: 1
; COMPUTE_PGM_RSRC2:TGID_Y_EN: 0
; COMPUTE_PGM_RSRC2:TGID_Z_EN: 0
; COMPUTE_PGM_RSRC2:TIDIG_COMP_CNT: 0
; COMPUTE_PGM_RSRC3_GFX90A:ACCUM_OFFSET: 6
; COMPUTE_PGM_RSRC3_GFX90A:TG_SPLIT: 0
	.section	.text._ZN9rocsolver6v33100L11lasr_kernelIffPfiEEv13rocblas_side_14rocblas_pivot_15rocblas_direct_T2_S6_PT0_lS8_lT1_lS6_lS6_,"axG",@progbits,_ZN9rocsolver6v33100L11lasr_kernelIffPfiEEv13rocblas_side_14rocblas_pivot_15rocblas_direct_T2_S6_PT0_lS8_lT1_lS6_lS6_,comdat
	.globl	_ZN9rocsolver6v33100L11lasr_kernelIffPfiEEv13rocblas_side_14rocblas_pivot_15rocblas_direct_T2_S6_PT0_lS8_lT1_lS6_lS6_ ; -- Begin function _ZN9rocsolver6v33100L11lasr_kernelIffPfiEEv13rocblas_side_14rocblas_pivot_15rocblas_direct_T2_S6_PT0_lS8_lT1_lS6_lS6_
	.p2align	8
	.type	_ZN9rocsolver6v33100L11lasr_kernelIffPfiEEv13rocblas_side_14rocblas_pivot_15rocblas_direct_T2_S6_PT0_lS8_lT1_lS6_lS6_,@function
_ZN9rocsolver6v33100L11lasr_kernelIffPfiEEv13rocblas_side_14rocblas_pivot_15rocblas_direct_T2_S6_PT0_lS8_lT1_lS6_lS6_: ; @_ZN9rocsolver6v33100L11lasr_kernelIffPfiEEv13rocblas_side_14rocblas_pivot_15rocblas_direct_T2_S6_PT0_lS8_lT1_lS6_lS6_
; %bb.0:
	s_load_dword s33, s[0:1], 0x58
	s_waitcnt lgkmcnt(0)
	s_cmp_ge_u32 s3, s33
	s_cbranch_scc1 .LBB4_108
; %bb.1:
	s_load_dwordx4 s[16:19], s[0:1], 0x38
	s_load_dword s20, s[0:1], 0x48
	s_load_dwordx2 s[22:23], s[0:1], 0x68
	s_load_dwordx4 s[4:7], s[0:1], 0x0
	s_load_dword s48, s[0:1], 0x10
	s_load_dwordx8 s[8:15], s[0:1], 0x18
	s_waitcnt lgkmcnt(0)
	s_ashr_i32 s21, s20, 31
	s_and_b32 s60, s23, 0xffff
	s_lshl_b64 s[72:73], s[18:19], 2
	s_add_u32 s18, s16, s72
	s_addc_u32 s19, s17, s73
	s_cmpk_eq_i32 s4, 0x8d
	s_cselect_b64 s[34:35], -1, 0
	s_cmpk_eq_i32 s4, 0x8e
	s_cselect_b64 s[42:43], -1, 0
	;; [unrolled: 2-line block ×7, first 2 shown]
	s_and_b64 s[30:31], s[34:35], s[4:5]
	s_and_b64 s[4:5], s[42:43], s[4:5]
	;; [unrolled: 1-line block ×3, first 2 shown]
	s_xor_b64 s[52:53], s[52:53], -1
                                        ; implicit-def: $vgpr44 : SGPR spill to VGPR lane
	s_and_b64 s[4:5], s[4:5], s[50:51]
	v_writelane_b32 v44, s52, 0
	s_xor_b64 s[4:5], s[4:5], -1
	s_and_b64 s[40:41], s[42:43], s[38:39]
	v_writelane_b32 v44, s53, 1
	v_writelane_b32 v44, s4, 2
	s_and_b64 s[42:43], s[42:43], s[44:45]
	s_mul_i32 s2, s2, s60
	v_writelane_b32 v44, s5, 3
	s_and_b64 s[4:5], s[42:43], s[46:47]
	s_xor_b64 s[4:5], s[4:5], -1
	v_add_u32_e32 v0, s2, v0
	v_writelane_b32 v44, s4, 4
	s_and_b64 s[26:27], s[34:35], s[38:39]
	s_and_b64 s[36:37], s[34:35], s[44:45]
	v_writelane_b32 v44, s5, 5
	v_cmp_gt_i32_e64 s[4:5], s7, v0
	s_and_b64 s[24:25], s[26:27], s[46:47]
	s_and_b64 s[26:27], s[26:27], s[50:51]
	s_and_b64 s[28:29], s[30:31], s[46:47]
	s_and_b64 s[30:31], s[30:31], s[50:51]
	s_and_b64 s[34:35], s[36:37], s[46:47]
	s_and_b64 s[36:37], s[36:37], s[50:51]
	s_and_b64 s[38:39], s[40:41], s[46:47]
	s_and_b64 s[40:41], s[40:41], s[50:51]
	s_and_b64 s[44:45], s[50:51], s[4:5]
	s_xor_b64 s[24:25], s[24:25], -1
	s_xor_b64 s[26:27], s[26:27], -1
	;; [unrolled: 1-line block ×8, first 2 shown]
	s_and_b64 s[42:43], s[42:43], s[44:45]
	s_add_i32 s2, s48, -1
	s_add_i32 s50, s48, -2
	v_writelane_b32 v44, s42, 6
	s_cmp_gt_i32 s48, 1
	s_cselect_b64 s[52:53], -1, 0
	v_writelane_b32 v44, s43, 7
	s_ashr_i32 s55, s7, 31
	s_add_i32 s42, s7, -2
	s_cmp_gt_i32 s7, 1
	s_mov_b32 s51, 0
	s_cselect_b64 s[56:57], -1, 0
	s_lshl_b64 s[44:45], s[50:51], 2
	s_add_u32 s6, s8, s44
	s_addc_u32 s23, s9, s45
	s_lshl_b64 s[10:11], s[10:11], 2
	s_load_dword s54, s[0:1], 0x60
	s_load_dwordx2 s[58:59], s[0:1], 0x50
	s_add_u32 s49, s12, s44
	s_mul_i32 s43, s21, s50
	s_mul_hi_u32 s44, s20, s50
	s_addc_u32 s46, s13, s45
	s_add_i32 s45, s44, s43
	s_mul_i32 s44, s20, s50
	s_lshl_b64 s[14:15], s[14:15], 2
	s_lshl_b64 s[44:45], s[44:45], 2
	s_add_u32 s43, s44, s72
	s_addc_u32 s44, s45, s73
	s_add_u32 s0, s16, s43
	s_waitcnt lgkmcnt(0)
	s_mul_i32 s60, s54, s60
	s_addc_u32 s1, s17, s44
	s_ashr_i32 s61, s60, 31
	s_lshl_b64 s[62:63], s[58:59], 2
	s_lshl_b64 s[64:65], s[60:61], 2
	;; [unrolled: 1-line block ×3, first 2 shown]
	s_sub_u32 s68, 0, s66
	s_mul_i32 s21, s21, s2
	s_mul_hi_u32 s43, s20, s2
	s_mul_i32 s70, s20, s2
	s_subb_u32 s69, 0, s67
	s_add_i32 s45, s43, s21
	s_mov_b32 s44, s70
	s_lshl_b64 s[44:45], s[44:45], 2
	s_add_i32 s21, s48, 1
	s_add_u32 s43, s44, s72
	s_addc_u32 s44, s45, s73
	s_add_u32 s74, s16, s43
	s_addc_u32 s75, s17, s44
	v_mad_i64_i32 v[2:3], s[44:45], s20, v0, 0
	s_add_u32 s43, s72, s66
	s_addc_u32 s44, s73, s67
	s_add_u32 s76, s16, s43
	s_mov_b32 s43, s51
	s_addc_u32 s77, s17, s44
	s_add_i32 s50, s7, -1
	s_lshl_b64 s[42:43], s[42:43], 2
	s_add_u32 s47, s8, s42
	s_addc_u32 s61, s9, s43
	s_add_u32 s44, s12, s42
	s_addc_u32 s45, s13, s43
	s_add_u32 s78, s16, s42
	s_addc_u32 s79, s17, s43
	s_mul_hi_i32 s43, s20, s60
	s_mul_i32 s42, s20, s60
	v_lshl_add_u64 v[12:13], v[2:3], 2, s[72:73]
	s_lshl_b64 s[72:73], s[42:43], 2
	s_add_i32 s42, s7, 1
	s_lshl_b64 s[80:81], s[50:51], 2
	s_add_u32 s80, s16, s80
	v_ashrrev_i32_e32 v1, 31, v0
	s_addc_u32 s81, s17, s81
	v_lshl_add_u64 v[2:3], s[16:17], 0, v[12:13]
	v_lshlrev_b64 v[14:15], 2, v[0:1]
	v_lshl_add_u64 v[10:11], s[78:79], 0, v[12:13]
	v_lshl_add_u64 v[4:5], s[0:1], 0, v[14:15]
	;; [unrolled: 1-line block ×5, first 2 shown]
	s_mul_hi_i32 s71, s20, s2
	s_mov_b32 s54, s7
	v_lshl_add_u64 v[14:15], s[18:19], 0, v[14:15]
	v_lshl_add_u64 v[16:17], v[2:3], 0, 4
	v_lshl_add_u64 v[18:19], v[10:11], 0, 4
	v_mov_b32_e32 v1, 0
	v_cmp_gt_i32_e64 s[0:1], s48, v0
	s_branch .LBB4_4
.LBB4_2:                                ;   in Loop: Header=BB4_4 Depth=1
	s_or_b64 exec, exec, s[78:79]
.LBB4_3:                                ;   in Loop: Header=BB4_4 Depth=1
	s_add_i32 s3, s3, s22
	s_cmp_ge_u32 s3, s33
	s_cbranch_scc1 .LBB4_108
.LBB4_4:                                ; =>This Loop Header: Depth=1
                                        ;     Child Loop BB4_19 Depth 2
                                        ;       Child Loop BB4_20 Depth 3
                                        ;     Child Loop BB4_26 Depth 2
                                        ;       Child Loop BB4_27 Depth 3
	;; [unrolled: 2-line block ×12, first 2 shown]
	v_mov_b32_e32 v20, s3
	v_mad_u64_u32 v[20:21], s[16:17], s62, v20, v[16:17]
	s_mul_i32 s16, s11, s3
	s_mul_hi_u32 s17, s10, s3
	s_add_i32 s43, s17, s16
	s_mul_i32 s51, s10, s3
	s_add_u32 s16, s8, s51
	s_mul_i32 s74, s15, s3
	s_mul_hi_u32 s75, s14, s3
	s_addc_u32 s17, s9, s43
	s_add_i32 s87, s75, s74
	s_mul_i32 s86, s14, s3
	s_add_u32 s74, s12, s86
	s_mul_i32 s76, s59, s3
	s_mul_hi_u32 s77, s58, s3
	s_addc_u32 s75, s13, s87
	s_add_i32 s77, s77, s76
	s_mul_i32 s76, s58, s3
	s_lshl_b64 s[76:77], s[76:77], 2
	s_mul_i32 s80, s63, s3
	s_add_u32 s76, s18, s76
	v_add_u32_e32 v21, s80, v21
	s_addc_u32 s77, s19, s77
	s_and_b64 vcc, exec, s[24:25]
	s_mov_b64 s[78:79], -1
	s_cbranch_vccnz .LBB4_6
; %bb.5:                                ;   in Loop: Header=BB4_4 Depth=1
	s_andn2_b64 vcc, exec, s[78:79]
	s_cbranch_vccnz .LBB4_3
	s_branch .LBB4_103
.LBB4_6:                                ;   in Loop: Header=BB4_4 Depth=1
	s_mul_hi_u32 s78, s62, s3
	s_add_i32 s83, s78, s80
	s_add_u32 s78, s47, s51
	s_addc_u32 s79, s61, s43
	s_add_u32 s80, s44, s86
	s_mul_i32 s82, s62, s3
	s_addc_u32 s81, s45, s87
	s_mov_b64 s[84:85], -1
	s_and_b64 vcc, exec, s[26:27]
	s_cbranch_vccz .LBB4_95
; %bb.7:                                ;   in Loop: Header=BB4_4 Depth=1
	s_and_b64 vcc, exec, s[28:29]
	s_cbranch_vccz .LBB4_87
; %bb.8:                                ;   in Loop: Header=BB4_4 Depth=1
	;; [unrolled: 3-line block ×3, first 2 shown]
	s_and_b64 vcc, exec, s[34:35]
	s_cbranch_vccz .LBB4_71
; %bb.10:                               ;   in Loop: Header=BB4_4 Depth=1
	s_and_b64 vcc, exec, s[36:37]
	s_cbranch_vccz .LBB4_63
; %bb.11:                               ;   in Loop: Header=BB4_4 Depth=1
	v_lshl_add_u64 v[22:23], v[14:15], 0, s[82:83]
	s_and_b64 vcc, exec, s[38:39]
	s_cbranch_vccz .LBB4_55
; %bb.12:                               ;   in Loop: Header=BB4_4 Depth=1
	s_add_u32 s84, s6, s51
	s_addc_u32 s85, s23, s43
	s_add_u32 s86, s49, s86
	v_lshl_add_u64 v[24:25], v[6:7], 0, s[82:83]
	s_addc_u32 s87, s46, s87
	v_lshl_add_u64 v[26:27], v[4:5], 0, s[82:83]
	s_mov_b64 s[88:89], -1
	s_and_b64 vcc, exec, s[40:41]
	s_cbranch_vccz .LBB4_46
; %bb.13:                               ;   in Loop: Header=BB4_4 Depth=1
	v_readlane_b32 s90, v44, 0
	v_readlane_b32 s91, v44, 1
	s_and_b64 vcc, exec, s[90:91]
	s_cbranch_vccz .LBB4_38
; %bb.14:                               ;   in Loop: Header=BB4_4 Depth=1
	v_readlane_b32 s90, v44, 2
	v_readlane_b32 s91, v44, 3
	;; [unrolled: 5-line block ×3, first 2 shown]
	s_and_b64 vcc, exec, s[90:91]
	s_cbranch_vccz .LBB4_22
; %bb.16:                               ;   in Loop: Header=BB4_4 Depth=1
	s_mov_b64 s[88:89], exec
	v_readlane_b32 s90, v44, 6
	v_readlane_b32 s91, v44, 7
	s_and_b64 s[90:91], s[88:89], s[90:91]
	s_mov_b64 exec, s[90:91]
	s_cbranch_execz .LBB4_21
; %bb.17:                               ;   in Loop: Header=BB4_4 Depth=1
	s_lshl_b64 s[90:91], s[70:71], 2
	s_add_u32 s90, s76, s90
	s_addc_u32 s91, s77, s91
	s_mov_b64 s[92:93], 0
	v_mov_b64_e32 v[28:29], v[26:27]
	v_mov_b32_e32 v30, v0
	s_branch .LBB4_19
.LBB4_18:                               ;   in Loop: Header=BB4_19 Depth=2
	v_add_u32_e32 v30, s60, v30
	v_cmp_le_i32_e32 vcc, s7, v30
	s_or_b64 s[92:93], vcc, s[92:93]
	v_lshl_add_u64 v[28:29], v[28:29], 0, s[64:65]
	s_waitcnt vmcnt(0)
	global_store_dword v[32:33], v34, off
	s_andn2_b64 exec, exec, s[92:93]
	s_cbranch_execz .LBB4_21
.LBB4_19:                               ;   Parent Loop BB4_4 Depth=1
                                        ; =>  This Loop Header: Depth=2
                                        ;       Child Loop BB4_20 Depth 3
	v_ashrrev_i32_e32 v31, 31, v30
	v_lshl_add_u64 v[32:33], v[30:31], 2, s[90:91]
	global_load_dword v34, v[32:33], off
	s_andn2_b64 vcc, exec, s[52:53]
	v_mov_b64_e32 v[36:37], v[28:29]
	s_mov_b64 s[94:95], s[86:87]
	s_mov_b64 s[96:97], s[84:85]
	s_mov_b32 s43, s2
	s_cbranch_vccnz .LBB4_18
.LBB4_20:                               ;   Parent Loop BB4_4 Depth=1
                                        ;     Parent Loop BB4_19 Depth=2
                                        ; =>    This Inner Loop Header: Depth=3
	global_load_dword v35, v1, s[96:97]
	global_load_dword v38, v1, s[94:95]
	global_load_dword v39, v[36:37], off
	s_add_i32 s43, s43, -1
	s_add_u32 s96, s96, -4
	s_addc_u32 s97, s97, -1
	s_waitcnt vmcnt(3)
	v_mov_b32_e32 v40, v34
	s_add_u32 s94, s94, -4
	s_addc_u32 s95, s95, -1
	s_cmp_eq_u32 s43, 0
	s_waitcnt vmcnt(1)
	v_mov_b32_e32 v41, v38
	s_waitcnt vmcnt(0)
	v_pk_mul_f32 v[42:43], v[34:35], v[38:39]
	v_mov_b32_e32 v38, v35
	v_add_f32_e32 v31, v42, v43
	v_pk_mul_f32 v[34:35], v[40:41], v[38:39]
	global_store_dword v[36:37], v31, off
	v_sub_f32_e32 v34, v34, v35
	v_lshl_add_u64 v[36:37], v[36:37], 0, s[68:69]
	s_cbranch_scc0 .LBB4_20
	s_branch .LBB4_18
.LBB4_21:                               ;   in Loop: Header=BB4_4 Depth=1
	s_or_b64 exec, exec, s[88:89]
	s_mov_b64 s[88:89], 0
.LBB4_22:                               ;   in Loop: Header=BB4_4 Depth=1
	s_andn2_b64 vcc, exec, s[88:89]
	s_cbranch_vccnz .LBB4_29
; %bb.23:                               ;   in Loop: Header=BB4_4 Depth=1
	s_and_saveexec_b64 s[88:89], s[4:5]
	s_cbranch_execz .LBB4_28
; %bb.24:                               ;   in Loop: Header=BB4_4 Depth=1
	s_lshl_b64 s[90:91], s[70:71], 2
	s_add_u32 s90, s76, s90
	s_addc_u32 s91, s77, s91
	s_mov_b64 s[92:93], 0
	v_mov_b64_e32 v[28:29], v[22:23]
	v_mov_b32_e32 v30, v0
	s_branch .LBB4_26
.LBB4_25:                               ;   in Loop: Header=BB4_26 Depth=2
	v_add_u32_e32 v30, s60, v30
	v_cmp_le_i32_e32 vcc, s7, v30
	s_or_b64 s[92:93], vcc, s[92:93]
	v_lshl_add_u64 v[28:29], v[28:29], 0, s[64:65]
	s_waitcnt vmcnt(0)
	global_store_dword v[32:33], v34, off
	s_andn2_b64 exec, exec, s[92:93]
	s_cbranch_execz .LBB4_28
.LBB4_26:                               ;   Parent Loop BB4_4 Depth=1
                                        ; =>  This Loop Header: Depth=2
                                        ;       Child Loop BB4_27 Depth 3
	v_ashrrev_i32_e32 v31, 31, v30
	v_lshl_add_u64 v[32:33], v[30:31], 2, s[90:91]
	global_load_dword v34, v[32:33], off
	s_andn2_b64 vcc, exec, s[52:53]
	v_mov_b64_e32 v[36:37], v[28:29]
	s_mov_b64 s[94:95], s[74:75]
	s_mov_b64 s[96:97], s[16:17]
	s_mov_b32 s43, s2
	s_cbranch_vccnz .LBB4_25
.LBB4_27:                               ;   Parent Loop BB4_4 Depth=1
                                        ;     Parent Loop BB4_26 Depth=2
                                        ; =>    This Inner Loop Header: Depth=3
	global_load_dword v35, v1, s[96:97]
	global_load_dword v38, v1, s[94:95]
	global_load_dword v39, v[36:37], off
	s_add_i32 s43, s43, -1
	s_add_u32 s96, s96, 4
	s_addc_u32 s97, s97, 0
	s_waitcnt vmcnt(3)
	v_mov_b32_e32 v40, v34
	s_add_u32 s94, s94, 4
	s_addc_u32 s95, s95, 0
	s_cmp_eq_u32 s43, 0
	s_waitcnt vmcnt(1)
	v_mov_b32_e32 v41, v38
	s_waitcnt vmcnt(0)
	v_pk_mul_f32 v[42:43], v[34:35], v[38:39]
	v_mov_b32_e32 v38, v35
	v_add_f32_e32 v31, v42, v43
	v_pk_mul_f32 v[34:35], v[40:41], v[38:39]
	global_store_dword v[36:37], v31, off
	v_sub_f32_e32 v34, v34, v35
	v_lshl_add_u64 v[36:37], v[36:37], 0, s[66:67]
	s_cbranch_scc0 .LBB4_27
	s_branch .LBB4_25
.LBB4_28:                               ;   in Loop: Header=BB4_4 Depth=1
	s_or_b64 exec, exec, s[88:89]
.LBB4_29:                               ;   in Loop: Header=BB4_4 Depth=1
	s_mov_b64 s[88:89], 0
.LBB4_30:                               ;   in Loop: Header=BB4_4 Depth=1
	s_andn2_b64 vcc, exec, s[88:89]
	s_cbranch_vccnz .LBB4_37
; %bb.31:                               ;   in Loop: Header=BB4_4 Depth=1
	s_and_saveexec_b64 s[88:89], s[4:5]
	s_cbranch_execz .LBB4_36
; %bb.32:                               ;   in Loop: Header=BB4_4 Depth=1
	s_mov_b64 s[90:91], 0
	v_mov_b64_e32 v[28:29], v[24:25]
	v_mov_b32_e32 v30, v0
	s_branch .LBB4_34
.LBB4_33:                               ;   in Loop: Header=BB4_34 Depth=2
	v_add_u32_e32 v30, s60, v30
	v_cmp_le_i32_e32 vcc, s7, v30
	s_or_b64 s[90:91], vcc, s[90:91]
	v_lshl_add_u64 v[28:29], v[28:29], 0, s[64:65]
	s_waitcnt vmcnt(0)
	global_store_dword v[32:33], v35, off
	s_andn2_b64 exec, exec, s[90:91]
	s_cbranch_execz .LBB4_36
.LBB4_34:                               ;   Parent Loop BB4_4 Depth=1
                                        ; =>  This Loop Header: Depth=2
                                        ;       Child Loop BB4_35 Depth 3
	v_ashrrev_i32_e32 v31, 31, v30
	v_lshl_add_u64 v[32:33], v[30:31], 2, s[76:77]
	global_load_dword v35, v[32:33], off
	s_andn2_b64 vcc, exec, s[52:53]
	v_mov_b64_e32 v[36:37], v[28:29]
	s_mov_b64 s[92:93], s[86:87]
	s_mov_b64 s[94:95], s[84:85]
	s_mov_b32 s43, s21
	s_cbranch_vccnz .LBB4_33
.LBB4_35:                               ;   Parent Loop BB4_4 Depth=1
                                        ;     Parent Loop BB4_34 Depth=2
                                        ; =>    This Inner Loop Header: Depth=3
	global_load_dword v34, v1, s[94:95]
	global_load_dword v39, v1, s[92:93]
	global_load_dword v38, v[36:37], off
	s_add_i32 s43, s43, -1
	s_add_u32 s94, s94, -4
	s_addc_u32 s95, s95, -1
	s_waitcnt vmcnt(3)
	v_mov_b32_e32 v40, v35
	s_add_u32 s92, s92, -4
	s_addc_u32 s93, s93, -1
	s_cmp_lt_u32 s43, 3
	s_waitcnt vmcnt(1)
	v_mov_b32_e32 v41, v39
	s_waitcnt vmcnt(0)
	v_pk_mul_f32 v[42:43], v[34:35], v[38:39]
	v_mov_b32_e32 v35, v38
	v_sub_f32_e32 v31, v42, v43
	v_pk_mul_f32 v[34:35], v[40:41], v[34:35]
	global_store_dword v[36:37], v31, off
	v_add_f32_e32 v35, v34, v35
	v_lshl_add_u64 v[36:37], v[36:37], 0, s[68:69]
	s_cbranch_scc0 .LBB4_35
	s_branch .LBB4_33
.LBB4_36:                               ;   in Loop: Header=BB4_4 Depth=1
	s_or_b64 exec, exec, s[88:89]
.LBB4_37:                               ;   in Loop: Header=BB4_4 Depth=1
	s_mov_b64 s[88:89], 0
.LBB4_38:                               ;   in Loop: Header=BB4_4 Depth=1
	s_andn2_b64 vcc, exec, s[88:89]
	s_cbranch_vccnz .LBB4_45
; %bb.39:                               ;   in Loop: Header=BB4_4 Depth=1
	s_and_saveexec_b64 s[88:89], s[4:5]
	s_cbranch_execz .LBB4_44
; %bb.40:                               ;   in Loop: Header=BB4_4 Depth=1
	v_lshl_add_u64 v[28:29], v[8:9], 0, s[82:83]
	s_mov_b64 s[90:91], 0
	v_mov_b32_e32 v30, v0
	s_branch .LBB4_42
.LBB4_41:                               ;   in Loop: Header=BB4_42 Depth=2
	v_add_u32_e32 v30, s60, v30
	v_cmp_le_i32_e32 vcc, s7, v30
	s_or_b64 s[90:91], vcc, s[90:91]
	v_lshl_add_u64 v[28:29], v[28:29], 0, s[64:65]
	s_waitcnt vmcnt(0)
	global_store_dword v[32:33], v35, off
	s_andn2_b64 exec, exec, s[90:91]
	s_cbranch_execz .LBB4_44
.LBB4_42:                               ;   Parent Loop BB4_4 Depth=1
                                        ; =>  This Loop Header: Depth=2
                                        ;       Child Loop BB4_43 Depth 3
	v_ashrrev_i32_e32 v31, 31, v30
	v_lshl_add_u64 v[32:33], v[30:31], 2, s[76:77]
	global_load_dword v35, v[32:33], off
	s_andn2_b64 vcc, exec, s[52:53]
	v_mov_b64_e32 v[36:37], v[28:29]
	s_mov_b32 s43, s2
	s_mov_b64 s[92:93], s[16:17]
	s_mov_b64 s[94:95], s[74:75]
	s_cbranch_vccnz .LBB4_41
.LBB4_43:                               ;   Parent Loop BB4_4 Depth=1
                                        ;     Parent Loop BB4_42 Depth=2
                                        ; =>    This Inner Loop Header: Depth=3
	global_load_dword v34, v1, s[92:93]
	global_load_dword v39, v1, s[94:95]
	global_load_dword v38, v[36:37], off
	s_add_u32 s94, s94, 4
	s_addc_u32 s95, s95, 0
	s_waitcnt vmcnt(3)
	v_mov_b32_e32 v40, v35
	s_add_u32 s92, s92, 4
	s_addc_u32 s93, s93, 0
	s_add_i32 s43, s43, -1
	s_cmp_eq_u32 s43, 0
	s_waitcnt vmcnt(1)
	v_mov_b32_e32 v41, v39
	s_waitcnt vmcnt(0)
	v_pk_mul_f32 v[42:43], v[34:35], v[38:39]
	v_mov_b32_e32 v35, v38
	v_sub_f32_e32 v31, v42, v43
	v_pk_mul_f32 v[34:35], v[40:41], v[34:35]
	global_store_dword v[36:37], v31, off
	v_add_f32_e32 v35, v34, v35
	v_lshl_add_u64 v[36:37], v[36:37], 0, s[66:67]
	s_cbranch_scc0 .LBB4_43
	s_branch .LBB4_41
.LBB4_44:                               ;   in Loop: Header=BB4_4 Depth=1
	s_or_b64 exec, exec, s[88:89]
.LBB4_45:                               ;   in Loop: Header=BB4_4 Depth=1
	s_mov_b64 s[88:89], 0
.LBB4_46:                               ;   in Loop: Header=BB4_4 Depth=1
	s_andn2_b64 vcc, exec, s[88:89]
	s_cbranch_vccnz .LBB4_54
; %bb.47:                               ;   in Loop: Header=BB4_4 Depth=1
	s_and_saveexec_b64 s[88:89], s[4:5]
	s_cbranch_execz .LBB4_53
; %bb.48:                               ;   in Loop: Header=BB4_4 Depth=1
	s_lshl_b64 s[90:91], s[70:71], 2
	s_add_u32 s90, s76, s90
	s_addc_u32 s91, s77, s91
	s_mov_b64 s[92:93], 0
	v_mov_b32_e32 v28, v0
	s_branch .LBB4_50
.LBB4_49:                               ;   in Loop: Header=BB4_50 Depth=2
	v_lshl_add_u64 v[32:33], v[28:29], 2, s[76:77]
	v_add_u32_e32 v28, s60, v28
	v_cmp_le_i32_e32 vcc, s7, v28
	v_lshl_add_u64 v[24:25], v[24:25], 0, s[64:65]
	s_or_b64 s[92:93], vcc, s[92:93]
	v_lshl_add_u64 v[26:27], v[26:27], 0, s[64:65]
	s_waitcnt vmcnt(0)
	global_store_dword v[32:33], v30, off
	s_andn2_b64 exec, exec, s[92:93]
	s_cbranch_execz .LBB4_53
.LBB4_50:                               ;   Parent Loop BB4_4 Depth=1
                                        ; =>  This Loop Header: Depth=2
                                        ;       Child Loop BB4_52 Depth 3
	v_ashrrev_i32_e32 v29, 31, v28
	v_lshl_add_u64 v[30:31], v[28:29], 2, s[90:91]
	global_load_dword v30, v[30:31], off
	s_andn2_b64 vcc, exec, s[52:53]
	s_cbranch_vccnz .LBB4_49
; %bb.51:                               ;   in Loop: Header=BB4_50 Depth=2
	s_mov_b64 s[94:95], 0
	s_mov_b64 s[96:97], s[86:87]
	;; [unrolled: 1-line block ×3, first 2 shown]
	s_mov_b32 s43, s2
.LBB4_52:                               ;   Parent Loop BB4_4 Depth=1
                                        ;     Parent Loop BB4_50 Depth=2
                                        ; =>    This Inner Loop Header: Depth=3
	v_lshl_add_u64 v[34:35], v[26:27], 0, s[94:95]
	global_load_dword v32, v1, s[98:99]
	global_load_dword v31, v1, s[96:97]
	global_load_dword v33, v[34:35], off
	s_add_i32 s43, s43, -1
	v_lshl_add_u64 v[34:35], v[24:25], 0, s[94:95]
	s_sub_u32 s94, s94, s66
	s_subb_u32 s95, s95, s67
	s_add_u32 s98, s98, -4
	s_addc_u32 s99, s99, -1
	s_waitcnt vmcnt(3)
	v_mov_b32_e32 v36, v30
	s_add_u32 s96, s96, -4
	s_addc_u32 s97, s97, -1
	s_cmp_eq_u32 s43, 0
	s_waitcnt vmcnt(2)
	v_mov_b32_e32 v37, v32
	s_waitcnt vmcnt(0)
	v_pk_mul_f32 v[38:39], v[30:31], v[32:33]
	v_mov_b32_e32 v32, v31
	v_pk_mul_f32 v[30:31], v[36:37], v[32:33]
	v_sub_f32_e32 v38, v38, v39
	v_add_f32_e32 v30, v30, v31
	global_store_dword v[34:35], v38, off
	s_cbranch_scc0 .LBB4_52
	s_branch .LBB4_49
.LBB4_53:                               ;   in Loop: Header=BB4_4 Depth=1
	s_or_b64 exec, exec, s[88:89]
.LBB4_54:                               ;   in Loop: Header=BB4_4 Depth=1
	s_mov_b64 s[84:85], 0
.LBB4_55:                               ;   in Loop: Header=BB4_4 Depth=1
	s_andn2_b64 vcc, exec, s[84:85]
	s_cbranch_vccnz .LBB4_62
; %bb.56:                               ;   in Loop: Header=BB4_4 Depth=1
	s_and_saveexec_b64 s[84:85], s[4:5]
	s_cbranch_execz .LBB4_61
; %bb.57:                               ;   in Loop: Header=BB4_4 Depth=1
	s_lshl_b64 s[86:87], s[70:71], 2
	s_add_u32 s86, s76, s86
	s_addc_u32 s87, s77, s87
	s_mov_b64 s[88:89], 0
	v_mov_b32_e32 v24, v0
	s_branch .LBB4_59
.LBB4_58:                               ;   in Loop: Header=BB4_59 Depth=2
	v_lshl_add_u64 v[28:29], v[24:25], 2, s[86:87]
	v_add_u32_e32 v24, s60, v24
	v_cmp_le_i32_e32 vcc, s7, v24
	s_or_b64 s[88:89], vcc, s[88:89]
	v_lshl_add_u64 v[22:23], v[22:23], 0, s[64:65]
	s_waitcnt vmcnt(0)
	global_store_dword v[28:29], v26, off
	s_andn2_b64 exec, exec, s[88:89]
	s_cbranch_execz .LBB4_61
.LBB4_59:                               ;   Parent Loop BB4_4 Depth=1
                                        ; =>  This Loop Header: Depth=2
                                        ;       Child Loop BB4_60 Depth 3
	v_ashrrev_i32_e32 v25, 31, v24
	v_lshl_add_u64 v[26:27], v[24:25], 2, s[76:77]
	global_load_dword v26, v[26:27], off
	s_andn2_b64 vcc, exec, s[52:53]
	s_mov_b64 s[90:91], s[74:75]
	s_mov_b64 s[92:93], s[16:17]
	v_mov_b64_e32 v[28:29], v[22:23]
	s_mov_b32 s43, s2
	s_cbranch_vccnz .LBB4_58
.LBB4_60:                               ;   Parent Loop BB4_4 Depth=1
                                        ;     Parent Loop BB4_59 Depth=2
                                        ; =>    This Inner Loop Header: Depth=3
	v_lshl_add_u64 v[32:33], v[28:29], 0, s[66:67]
	global_load_dword v30, v1, s[92:93]
	global_load_dword v27, v1, s[90:91]
	global_load_dword v31, v[32:33], off
	s_add_i32 s43, s43, -1
	s_add_u32 s92, s92, 4
	s_addc_u32 s93, s93, 0
	s_waitcnt vmcnt(3)
	v_mov_b32_e32 v35, v26
	s_add_u32 s90, s90, 4
	s_addc_u32 s91, s91, 0
	s_cmp_eq_u32 s43, 0
	s_waitcnt vmcnt(2)
	v_mov_b32_e32 v34, v30
	s_waitcnt vmcnt(0)
	v_pk_mul_f32 v[36:37], v[26:27], v[30:31]
	v_mov_b32_e32 v26, v31
	v_add_f32_e32 v30, v36, v37
	v_pk_mul_f32 v[26:27], v[34:35], v[26:27]
	global_store_dword v[28:29], v30, off
	v_sub_f32_e32 v26, v26, v27
	v_mov_b64_e32 v[28:29], v[32:33]
	s_cbranch_scc0 .LBB4_60
	s_branch .LBB4_58
.LBB4_61:                               ;   in Loop: Header=BB4_4 Depth=1
	s_or_b64 exec, exec, s[84:85]
.LBB4_62:                               ;   in Loop: Header=BB4_4 Depth=1
	s_mov_b64 s[84:85], 0
.LBB4_63:                               ;   in Loop: Header=BB4_4 Depth=1
	s_andn2_b64 vcc, exec, s[84:85]
	s_cbranch_vccnz .LBB4_70
; %bb.64:                               ;   in Loop: Header=BB4_4 Depth=1
	s_and_saveexec_b64 s[84:85], s[0:1]
	s_cbranch_execz .LBB4_69
; %bb.65:                               ;   in Loop: Header=BB4_4 Depth=1
	s_lshl_b64 s[86:87], s[54:55], 2
	s_add_u32 s86, s76, s86
	v_lshl_add_u64 v[22:23], v[10:11], 0, s[82:83]
	s_addc_u32 s87, s77, s87
	s_mov_b64 s[88:89], 0
	v_mov_b32_e32 v30, v0
	s_branch .LBB4_67
.LBB4_66:                               ;   in Loop: Header=BB4_67 Depth=2
	v_add_u32_e32 v30, s60, v30
	v_cmp_le_i32_e32 vcc, s48, v30
	s_or_b64 s[88:89], vcc, s[88:89]
	v_lshl_add_u64 v[22:23], v[22:23], 0, s[72:73]
	s_waitcnt vmcnt(0)
	global_store_dword v[24:25], v26, off offset:-4
	s_andn2_b64 exec, exec, s[88:89]
	s_cbranch_execz .LBB4_69
.LBB4_67:                               ;   Parent Loop BB4_4 Depth=1
                                        ; =>  This Loop Header: Depth=2
                                        ;       Child Loop BB4_68 Depth 3
	v_mad_i64_i32 v[24:25], s[90:91], v30, s20, 0
	v_lshl_add_u64 v[24:25], v[24:25], 2, s[86:87]
	global_load_dword v26, v[24:25], off offset:-4
	s_andn2_b64 vcc, exec, s[56:57]
	v_mov_b64_e32 v[28:29], v[22:23]
	s_mov_b64 s[90:91], s[80:81]
	s_mov_b64 s[92:93], s[78:79]
	s_mov_b32 s43, s50
	s_cbranch_vccnz .LBB4_66
.LBB4_68:                               ;   Parent Loop BB4_4 Depth=1
                                        ;     Parent Loop BB4_67 Depth=2
                                        ; =>    This Inner Loop Header: Depth=3
	global_load_dword v27, v1, s[92:93]
	global_load_dword v32, v1, s[90:91]
	global_load_dword v33, v[28:29], off
	s_add_i32 s43, s43, -1
	s_add_u32 s92, s92, -4
	s_addc_u32 s93, s93, -1
	s_waitcnt vmcnt(3)
	v_mov_b32_e32 v34, v26
	s_add_u32 s90, s90, -4
	s_addc_u32 s91, s91, -1
	s_cmp_eq_u32 s43, 0
	s_waitcnt vmcnt(1)
	v_mov_b32_e32 v35, v32
	s_waitcnt vmcnt(0)
	v_pk_mul_f32 v[36:37], v[26:27], v[32:33]
	v_mov_b32_e32 v32, v27
	v_add_f32_e32 v31, v36, v37
	v_pk_mul_f32 v[26:27], v[34:35], v[32:33]
	global_store_dword v[28:29], v31, off
	v_sub_f32_e32 v26, v26, v27
	v_lshl_add_u64 v[28:29], v[28:29], 0, -4
	s_cbranch_scc0 .LBB4_68
	s_branch .LBB4_66
.LBB4_69:                               ;   in Loop: Header=BB4_4 Depth=1
	s_or_b64 exec, exec, s[84:85]
.LBB4_70:                               ;   in Loop: Header=BB4_4 Depth=1
	s_mov_b64 s[84:85], 0
.LBB4_71:                               ;   in Loop: Header=BB4_4 Depth=1
	s_andn2_b64 vcc, exec, s[84:85]
	s_cbranch_vccnz .LBB4_78
; %bb.72:                               ;   in Loop: Header=BB4_4 Depth=1
	s_and_saveexec_b64 s[84:85], s[0:1]
	s_cbranch_execz .LBB4_77
; %bb.73:                               ;   in Loop: Header=BB4_4 Depth=1
	s_lshl_b64 s[86:87], s[54:55], 2
	s_add_u32 s86, s76, s86
	v_lshl_add_u64 v[22:23], v[2:3], 0, s[82:83]
	s_addc_u32 s87, s77, s87
	s_mov_b64 s[88:89], 0
	v_mov_b32_e32 v30, v0
	s_branch .LBB4_75
.LBB4_74:                               ;   in Loop: Header=BB4_75 Depth=2
	v_add_u32_e32 v30, s60, v30
	v_cmp_le_i32_e32 vcc, s48, v30
	s_or_b64 s[88:89], vcc, s[88:89]
	v_lshl_add_u64 v[22:23], v[22:23], 0, s[72:73]
	s_waitcnt vmcnt(0)
	global_store_dword v[24:25], v26, off offset:-4
	s_andn2_b64 exec, exec, s[88:89]
	s_cbranch_execz .LBB4_77
.LBB4_75:                               ;   Parent Loop BB4_4 Depth=1
                                        ; =>  This Loop Header: Depth=2
                                        ;       Child Loop BB4_76 Depth 3
	v_mad_i64_i32 v[24:25], s[90:91], v30, s20, 0
	v_lshl_add_u64 v[24:25], v[24:25], 2, s[86:87]
	global_load_dword v26, v[24:25], off offset:-4
	s_andn2_b64 vcc, exec, s[56:57]
	v_mov_b64_e32 v[28:29], v[22:23]
	s_mov_b64 s[90:91], s[74:75]
	s_mov_b64 s[92:93], s[16:17]
	s_mov_b32 s43, s50
	s_cbranch_vccnz .LBB4_74
.LBB4_76:                               ;   Parent Loop BB4_4 Depth=1
                                        ;     Parent Loop BB4_75 Depth=2
                                        ; =>    This Inner Loop Header: Depth=3
	global_load_dword v27, v1, s[92:93]
	global_load_dword v32, v1, s[90:91]
	global_load_dword v33, v[28:29], off
	s_add_i32 s43, s43, -1
	s_add_u32 s92, s92, 4
	s_addc_u32 s93, s93, 0
	s_waitcnt vmcnt(3)
	v_mov_b32_e32 v34, v26
	s_add_u32 s90, s90, 4
	s_addc_u32 s91, s91, 0
	s_cmp_eq_u32 s43, 0
	s_waitcnt vmcnt(1)
	v_mov_b32_e32 v35, v32
	s_waitcnt vmcnt(0)
	v_pk_mul_f32 v[36:37], v[26:27], v[32:33]
	v_mov_b32_e32 v32, v27
	v_add_f32_e32 v31, v36, v37
	v_pk_mul_f32 v[26:27], v[34:35], v[32:33]
	global_store_dword v[28:29], v31, off
	v_sub_f32_e32 v26, v26, v27
	v_lshl_add_u64 v[28:29], v[28:29], 0, 4
	s_cbranch_scc0 .LBB4_76
	s_branch .LBB4_74
.LBB4_77:                               ;   in Loop: Header=BB4_4 Depth=1
	s_or_b64 exec, exec, s[84:85]
.LBB4_78:                               ;   in Loop: Header=BB4_4 Depth=1
	s_mov_b64 s[84:85], 0
.LBB4_79:                               ;   in Loop: Header=BB4_4 Depth=1
	s_andn2_b64 vcc, exec, s[84:85]
	s_cbranch_vccnz .LBB4_86
; %bb.80:                               ;   in Loop: Header=BB4_4 Depth=1
	s_and_saveexec_b64 s[84:85], s[0:1]
	s_cbranch_execz .LBB4_85
; %bb.81:                               ;   in Loop: Header=BB4_4 Depth=1
	v_lshl_add_u64 v[22:23], v[12:13], 0, s[82:83]
	s_mov_b64 s[86:87], 0
	v_mov_b32_e32 v30, v0
	s_branch .LBB4_83
.LBB4_82:                               ;   in Loop: Header=BB4_83 Depth=2
	v_add_u32_e32 v30, s60, v30
	v_cmp_le_i32_e32 vcc, s48, v30
	s_or_b64 s[86:87], vcc, s[86:87]
	v_lshl_add_u64 v[22:23], v[22:23], 0, s[72:73]
	s_waitcnt vmcnt(0)
	global_store_dword v[24:25], v27, off
	s_andn2_b64 exec, exec, s[86:87]
	s_cbranch_execz .LBB4_85
.LBB4_83:                               ;   Parent Loop BB4_4 Depth=1
                                        ; =>  This Loop Header: Depth=2
                                        ;       Child Loop BB4_84 Depth 3
	v_mad_i64_i32 v[24:25], s[88:89], v30, s20, 0
	v_lshl_add_u64 v[24:25], v[24:25], 2, s[76:77]
	global_load_dword v27, v[24:25], off
	s_andn2_b64 vcc, exec, s[56:57]
	v_mov_b64_e32 v[28:29], v[22:23]
	s_mov_b64 s[88:89], s[80:81]
	s_mov_b64 s[90:91], s[78:79]
	s_mov_b32 s43, s42
	s_cbranch_vccnz .LBB4_82
.LBB4_84:                               ;   Parent Loop BB4_4 Depth=1
                                        ;     Parent Loop BB4_83 Depth=2
                                        ; =>    This Inner Loop Header: Depth=3
	global_load_dword v26, v1, s[90:91]
	global_load_dword v33, v1, s[88:89]
	global_load_dword v32, v[28:29], off
	s_add_i32 s43, s43, -1
	s_add_u32 s90, s90, -4
	s_addc_u32 s91, s91, -1
	s_waitcnt vmcnt(3)
	v_mov_b32_e32 v34, v27
	s_add_u32 s88, s88, -4
	s_addc_u32 s89, s89, -1
	s_cmp_lt_u32 s43, 3
	s_waitcnt vmcnt(1)
	v_mov_b32_e32 v35, v33
	s_waitcnt vmcnt(0)
	v_pk_mul_f32 v[36:37], v[26:27], v[32:33]
	v_mov_b32_e32 v27, v32
	v_sub_f32_e32 v31, v36, v37
	v_pk_mul_f32 v[26:27], v[34:35], v[26:27]
	global_store_dword v[28:29], v31, off
	v_add_f32_e32 v27, v26, v27
	v_lshl_add_u64 v[28:29], v[28:29], 0, -4
	s_cbranch_scc0 .LBB4_84
	s_branch .LBB4_82
.LBB4_85:                               ;   in Loop: Header=BB4_4 Depth=1
	s_or_b64 exec, exec, s[84:85]
.LBB4_86:                               ;   in Loop: Header=BB4_4 Depth=1
	s_mov_b64 s[84:85], 0
.LBB4_87:                               ;   in Loop: Header=BB4_4 Depth=1
	s_andn2_b64 vcc, exec, s[84:85]
	s_cbranch_vccnz .LBB4_94
; %bb.88:                               ;   in Loop: Header=BB4_4 Depth=1
	s_and_saveexec_b64 s[84:85], s[0:1]
	s_cbranch_execz .LBB4_93
; %bb.89:                               ;   in Loop: Header=BB4_4 Depth=1
	s_mov_b64 s[86:87], 0
	v_mov_b64_e32 v[22:23], v[20:21]
	v_mov_b32_e32 v30, v0
	s_branch .LBB4_91
.LBB4_90:                               ;   in Loop: Header=BB4_91 Depth=2
	v_add_u32_e32 v30, s60, v30
	v_cmp_le_i32_e32 vcc, s48, v30
	s_or_b64 s[86:87], vcc, s[86:87]
	v_lshl_add_u64 v[22:23], v[22:23], 0, s[72:73]
	s_waitcnt vmcnt(0)
	global_store_dword v[24:25], v27, off
	s_andn2_b64 exec, exec, s[86:87]
	s_cbranch_execz .LBB4_93
.LBB4_91:                               ;   Parent Loop BB4_4 Depth=1
                                        ; =>  This Loop Header: Depth=2
                                        ;       Child Loop BB4_92 Depth 3
	v_mad_i64_i32 v[24:25], s[88:89], v30, s20, 0
	v_lshl_add_u64 v[24:25], v[24:25], 2, s[76:77]
	global_load_dword v27, v[24:25], off
	s_andn2_b64 vcc, exec, s[56:57]
	v_mov_b64_e32 v[28:29], v[22:23]
	s_mov_b32 s43, s50
	s_mov_b64 s[88:89], s[16:17]
	s_mov_b64 s[90:91], s[74:75]
	s_cbranch_vccnz .LBB4_90
.LBB4_92:                               ;   Parent Loop BB4_4 Depth=1
                                        ;     Parent Loop BB4_91 Depth=2
                                        ; =>    This Inner Loop Header: Depth=3
	global_load_dword v26, v1, s[88:89]
	global_load_dword v33, v1, s[90:91]
	global_load_dword v32, v[28:29], off
	s_add_u32 s90, s90, 4
	s_addc_u32 s91, s91, 0
	s_waitcnt vmcnt(3)
	v_mov_b32_e32 v34, v27
	s_add_u32 s88, s88, 4
	s_addc_u32 s89, s89, 0
	s_add_i32 s43, s43, -1
	s_cmp_eq_u32 s43, 0
	s_waitcnt vmcnt(1)
	v_mov_b32_e32 v35, v33
	s_waitcnt vmcnt(0)
	v_pk_mul_f32 v[36:37], v[26:27], v[32:33]
	v_mov_b32_e32 v27, v32
	v_sub_f32_e32 v31, v36, v37
	v_pk_mul_f32 v[26:27], v[34:35], v[26:27]
	global_store_dword v[28:29], v31, off
	v_add_f32_e32 v27, v26, v27
	v_lshl_add_u64 v[28:29], v[28:29], 0, 4
	s_cbranch_scc0 .LBB4_92
	s_branch .LBB4_90
.LBB4_93:                               ;   in Loop: Header=BB4_4 Depth=1
	s_or_b64 exec, exec, s[84:85]
.LBB4_94:                               ;   in Loop: Header=BB4_4 Depth=1
	s_mov_b64 s[84:85], 0
.LBB4_95:                               ;   in Loop: Header=BB4_4 Depth=1
	s_andn2_b64 vcc, exec, s[84:85]
	s_cbranch_vccnz .LBB4_102
; %bb.96:                               ;   in Loop: Header=BB4_4 Depth=1
	s_and_saveexec_b64 s[84:85], s[0:1]
	s_cbranch_execz .LBB4_101
; %bb.97:                               ;   in Loop: Header=BB4_4 Depth=1
	v_lshl_add_u64 v[22:23], v[18:19], 0, s[82:83]
	s_lshl_b64 s[82:83], s[54:55], 2
	s_add_u32 s82, s76, s82
	s_addc_u32 s83, s77, s83
	s_mov_b64 s[86:87], 0
	v_mov_b32_e32 v30, v0
	s_branch .LBB4_99
.LBB4_98:                               ;   in Loop: Header=BB4_99 Depth=2
	v_add_u32_e32 v30, s60, v30
	v_cmp_le_i32_e32 vcc, s48, v30
	v_lshl_add_u64 v[24:25], v[24:25], 2, s[76:77]
	s_or_b64 s[86:87], vcc, s[86:87]
	v_lshl_add_u64 v[22:23], v[22:23], 0, s[72:73]
	s_waitcnt vmcnt(0)
	global_store_dword v[24:25], v26, off
	s_andn2_b64 exec, exec, s[86:87]
	s_cbranch_execz .LBB4_101
.LBB4_99:                               ;   Parent Loop BB4_4 Depth=1
                                        ; =>  This Loop Header: Depth=2
                                        ;       Child Loop BB4_100 Depth 3
	v_mad_i64_i32 v[24:25], s[88:89], v30, s20, 0
	v_lshl_add_u64 v[26:27], v[24:25], 2, s[82:83]
	global_load_dword v26, v[26:27], off offset:-4
	s_andn2_b64 vcc, exec, s[56:57]
	v_mov_b64_e32 v[28:29], v[22:23]
	s_mov_b64 s[88:89], s[80:81]
	s_mov_b64 s[90:91], s[78:79]
	s_mov_b32 s43, s50
	s_cbranch_vccnz .LBB4_98
.LBB4_100:                              ;   Parent Loop BB4_4 Depth=1
                                        ;     Parent Loop BB4_99 Depth=2
                                        ; =>    This Inner Loop Header: Depth=3
	global_load_dword v32, v1, s[90:91]
	global_load_dword v27, v1, s[88:89]
	global_load_dword v33, v[28:29], off offset:-4
	s_add_i32 s43, s43, -1
	s_add_u32 s90, s90, -4
	s_addc_u32 s91, s91, -1
	s_waitcnt vmcnt(3)
	v_mov_b32_e32 v36, v26
	s_add_u32 s88, s88, -4
	v_lshl_add_u64 v[34:35], v[28:29], 0, -4
	s_addc_u32 s89, s89, -1
	s_cmp_eq_u32 s43, 0
	s_waitcnt vmcnt(2)
	v_mov_b32_e32 v37, v32
	s_waitcnt vmcnt(0)
	v_pk_mul_f32 v[38:39], v[26:27], v[32:33]
	v_mov_b32_e32 v32, v27
	v_sub_f32_e32 v31, v38, v39
	v_pk_mul_f32 v[26:27], v[36:37], v[32:33]
	global_store_dword v[28:29], v31, off
	v_add_f32_e32 v26, v26, v27
	v_mov_b64_e32 v[28:29], v[34:35]
	s_cbranch_scc0 .LBB4_100
	s_branch .LBB4_98
.LBB4_101:                              ;   in Loop: Header=BB4_4 Depth=1
	s_or_b64 exec, exec, s[84:85]
.LBB4_102:                              ;   in Loop: Header=BB4_4 Depth=1
	s_cbranch_execnz .LBB4_3
.LBB4_103:                              ;   in Loop: Header=BB4_4 Depth=1
	s_and_saveexec_b64 s[78:79], s[0:1]
	s_cbranch_execz .LBB4_2
; %bb.104:                              ;   in Loop: Header=BB4_4 Depth=1
	s_lshl_b64 s[80:81], s[54:55], 2
	s_add_u32 s80, s76, s80
	s_addc_u32 s81, s77, s81
	s_mov_b64 s[82:83], 0
	v_mov_b32_e32 v28, v0
	s_branch .LBB4_106
.LBB4_105:                              ;   in Loop: Header=BB4_106 Depth=2
	v_add_u32_e32 v28, s60, v28
	v_cmp_le_i32_e32 vcc, s48, v28
	v_lshl_add_u64 v[22:23], v[22:23], 2, s[80:81]
	s_or_b64 s[82:83], vcc, s[82:83]
	v_lshl_add_u64 v[20:21], v[20:21], 0, s[72:73]
	s_waitcnt vmcnt(0)
	global_store_dword v[22:23], v24, off offset:-4
	s_andn2_b64 exec, exec, s[82:83]
	s_cbranch_execz .LBB4_2
.LBB4_106:                              ;   Parent Loop BB4_4 Depth=1
                                        ; =>  This Loop Header: Depth=2
                                        ;       Child Loop BB4_107 Depth 3
	v_mad_i64_i32 v[22:23], s[84:85], v28, s20, 0
	v_lshl_add_u64 v[24:25], v[22:23], 2, s[76:77]
	global_load_dword v24, v[24:25], off
	s_andn2_b64 vcc, exec, s[56:57]
	s_mov_b64 s[84:85], s[74:75]
	s_mov_b64 s[86:87], s[16:17]
	v_mov_b64_e32 v[26:27], v[20:21]
	s_mov_b32 s43, s50
	s_cbranch_vccnz .LBB4_105
.LBB4_107:                              ;   Parent Loop BB4_4 Depth=1
                                        ;     Parent Loop BB4_106 Depth=2
                                        ; =>    This Inner Loop Header: Depth=3
	global_load_dword v30, v1, s[86:87]
	global_load_dword v25, v1, s[84:85]
	global_load_dword v31, v[26:27], off
	s_add_i32 s43, s43, -1
	s_add_u32 s86, s86, 4
	s_addc_u32 s87, s87, 0
	s_waitcnt vmcnt(3)
	v_mov_b32_e32 v33, v24
	s_add_u32 s84, s84, 4
	s_addc_u32 s85, s85, 0
	s_cmp_eq_u32 s43, 0
	s_waitcnt vmcnt(2)
	v_mov_b32_e32 v32, v30
	s_waitcnt vmcnt(0)
	v_pk_mul_f32 v[34:35], v[24:25], v[30:31]
	v_mov_b32_e32 v24, v31
	v_add_f32_e32 v29, v34, v35
	v_pk_mul_f32 v[24:25], v[32:33], v[24:25]
	global_store_dword v[26:27], v29, off offset:-4
	v_sub_f32_e32 v24, v24, v25
	v_lshl_add_u64 v[26:27], v[26:27], 0, 4
	s_cbranch_scc0 .LBB4_107
	s_branch .LBB4_105
.LBB4_108:
	s_endpgm
	.section	.rodata,"a",@progbits
	.p2align	6, 0x0
	.amdhsa_kernel _ZN9rocsolver6v33100L11lasr_kernelIffPfiEEv13rocblas_side_14rocblas_pivot_15rocblas_direct_T2_S6_PT0_lS8_lT1_lS6_lS6_
		.amdhsa_group_segment_fixed_size 0
		.amdhsa_private_segment_fixed_size 0
		.amdhsa_kernarg_size 352
		.amdhsa_user_sgpr_count 2
		.amdhsa_user_sgpr_dispatch_ptr 0
		.amdhsa_user_sgpr_queue_ptr 0
		.amdhsa_user_sgpr_kernarg_segment_ptr 1
		.amdhsa_user_sgpr_dispatch_id 0
		.amdhsa_user_sgpr_kernarg_preload_length 0
		.amdhsa_user_sgpr_kernarg_preload_offset 0
		.amdhsa_user_sgpr_private_segment_size 0
		.amdhsa_uses_dynamic_stack 0
		.amdhsa_enable_private_segment 0
		.amdhsa_system_sgpr_workgroup_id_x 1
		.amdhsa_system_sgpr_workgroup_id_y 0
		.amdhsa_system_sgpr_workgroup_id_z 1
		.amdhsa_system_sgpr_workgroup_info 0
		.amdhsa_system_vgpr_workitem_id 0
		.amdhsa_next_free_vgpr 45
		.amdhsa_next_free_sgpr 100
		.amdhsa_accum_offset 48
		.amdhsa_reserve_vcc 1
		.amdhsa_float_round_mode_32 0
		.amdhsa_float_round_mode_16_64 0
		.amdhsa_float_denorm_mode_32 3
		.amdhsa_float_denorm_mode_16_64 3
		.amdhsa_dx10_clamp 1
		.amdhsa_ieee_mode 1
		.amdhsa_fp16_overflow 0
		.amdhsa_tg_split 0
		.amdhsa_exception_fp_ieee_invalid_op 0
		.amdhsa_exception_fp_denorm_src 0
		.amdhsa_exception_fp_ieee_div_zero 0
		.amdhsa_exception_fp_ieee_overflow 0
		.amdhsa_exception_fp_ieee_underflow 0
		.amdhsa_exception_fp_ieee_inexact 0
		.amdhsa_exception_int_div_zero 0
	.end_amdhsa_kernel
	.section	.text._ZN9rocsolver6v33100L11lasr_kernelIffPfiEEv13rocblas_side_14rocblas_pivot_15rocblas_direct_T2_S6_PT0_lS8_lT1_lS6_lS6_,"axG",@progbits,_ZN9rocsolver6v33100L11lasr_kernelIffPfiEEv13rocblas_side_14rocblas_pivot_15rocblas_direct_T2_S6_PT0_lS8_lT1_lS6_lS6_,comdat
.Lfunc_end4:
	.size	_ZN9rocsolver6v33100L11lasr_kernelIffPfiEEv13rocblas_side_14rocblas_pivot_15rocblas_direct_T2_S6_PT0_lS8_lT1_lS6_lS6_, .Lfunc_end4-_ZN9rocsolver6v33100L11lasr_kernelIffPfiEEv13rocblas_side_14rocblas_pivot_15rocblas_direct_T2_S6_PT0_lS8_lT1_lS6_lS6_
                                        ; -- End function
	.set _ZN9rocsolver6v33100L11lasr_kernelIffPfiEEv13rocblas_side_14rocblas_pivot_15rocblas_direct_T2_S6_PT0_lS8_lT1_lS6_lS6_.num_vgpr, 45
	.set _ZN9rocsolver6v33100L11lasr_kernelIffPfiEEv13rocblas_side_14rocblas_pivot_15rocblas_direct_T2_S6_PT0_lS8_lT1_lS6_lS6_.num_agpr, 0
	.set _ZN9rocsolver6v33100L11lasr_kernelIffPfiEEv13rocblas_side_14rocblas_pivot_15rocblas_direct_T2_S6_PT0_lS8_lT1_lS6_lS6_.numbered_sgpr, 100
	.set _ZN9rocsolver6v33100L11lasr_kernelIffPfiEEv13rocblas_side_14rocblas_pivot_15rocblas_direct_T2_S6_PT0_lS8_lT1_lS6_lS6_.num_named_barrier, 0
	.set _ZN9rocsolver6v33100L11lasr_kernelIffPfiEEv13rocblas_side_14rocblas_pivot_15rocblas_direct_T2_S6_PT0_lS8_lT1_lS6_lS6_.private_seg_size, 0
	.set _ZN9rocsolver6v33100L11lasr_kernelIffPfiEEv13rocblas_side_14rocblas_pivot_15rocblas_direct_T2_S6_PT0_lS8_lT1_lS6_lS6_.uses_vcc, 1
	.set _ZN9rocsolver6v33100L11lasr_kernelIffPfiEEv13rocblas_side_14rocblas_pivot_15rocblas_direct_T2_S6_PT0_lS8_lT1_lS6_lS6_.uses_flat_scratch, 0
	.set _ZN9rocsolver6v33100L11lasr_kernelIffPfiEEv13rocblas_side_14rocblas_pivot_15rocblas_direct_T2_S6_PT0_lS8_lT1_lS6_lS6_.has_dyn_sized_stack, 0
	.set _ZN9rocsolver6v33100L11lasr_kernelIffPfiEEv13rocblas_side_14rocblas_pivot_15rocblas_direct_T2_S6_PT0_lS8_lT1_lS6_lS6_.has_recursion, 0
	.set _ZN9rocsolver6v33100L11lasr_kernelIffPfiEEv13rocblas_side_14rocblas_pivot_15rocblas_direct_T2_S6_PT0_lS8_lT1_lS6_lS6_.has_indirect_call, 0
	.section	.AMDGPU.csdata,"",@progbits
; Kernel info:
; codeLenInByte = 4212
; TotalNumSgprs: 106
; NumVgprs: 45
; NumAgprs: 0
; TotalNumVgprs: 45
; ScratchSize: 0
; MemoryBound: 0
; FloatMode: 240
; IeeeMode: 1
; LDSByteSize: 0 bytes/workgroup (compile time only)
; SGPRBlocks: 13
; VGPRBlocks: 5
; NumSGPRsForWavesPerEU: 106
; NumVGPRsForWavesPerEU: 45
; AccumOffset: 48
; Occupancy: 7
; WaveLimiterHint : 0
; COMPUTE_PGM_RSRC2:SCRATCH_EN: 0
; COMPUTE_PGM_RSRC2:USER_SGPR: 2
; COMPUTE_PGM_RSRC2:TRAP_HANDLER: 0
; COMPUTE_PGM_RSRC2:TGID_X_EN: 1
; COMPUTE_PGM_RSRC2:TGID_Y_EN: 0
; COMPUTE_PGM_RSRC2:TGID_Z_EN: 1
; COMPUTE_PGM_RSRC2:TIDIG_COMP_CNT: 0
; COMPUTE_PGM_RSRC3_GFX90A:ACCUM_OFFSET: 11
; COMPUTE_PGM_RSRC3_GFX90A:TG_SPLIT: 0
	.section	.text._ZN9rocsolver6v33100L11swap_kernelIfiEEvT0_PT_S2_S4_S2_,"axG",@progbits,_ZN9rocsolver6v33100L11swap_kernelIfiEEvT0_PT_S2_S4_S2_,comdat
	.globl	_ZN9rocsolver6v33100L11swap_kernelIfiEEvT0_PT_S2_S4_S2_ ; -- Begin function _ZN9rocsolver6v33100L11swap_kernelIfiEEvT0_PT_S2_S4_S2_
	.p2align	8
	.type	_ZN9rocsolver6v33100L11swap_kernelIfiEEvT0_PT_S2_S4_S2_,@function
_ZN9rocsolver6v33100L11swap_kernelIfiEEvT0_PT_S2_S4_S2_: ; @_ZN9rocsolver6v33100L11swap_kernelIfiEEvT0_PT_S2_S4_S2_
; %bb.0:
	s_load_dword s16, s[0:1], 0x0
	s_waitcnt lgkmcnt(0)
	s_cmp_lt_i32 s16, 1
	s_cbranch_scc1 .LBB5_10
; %bb.1:
	s_load_dword s8, s[0:1], 0x28
	s_load_dword s9, s[0:1], 0x34
	s_load_dwordx2 s[4:5], s[0:1], 0x8
	s_load_dword s3, s[0:1], 0x10
	s_load_dwordx2 s[6:7], s[0:1], 0x18
	s_load_dword s10, s[0:1], 0x20
	s_waitcnt lgkmcnt(0)
	s_and_b32 s0, s9, 0xffff
	s_mul_i32 s2, s2, s0
	s_cmp_eq_u32 s3, 1
	v_add_u32_e32 v0, s2, v0
	s_mul_i32 s2, s8, s0
	s_cselect_b64 s[0:1], -1, 0
	s_cmp_eq_u32 s10, 1
	s_cselect_b64 s[8:9], -1, 0
	s_and_b64 s[12:13], s[0:1], s[8:9]
	v_cmp_gt_i32_e64 s[0:1], s16, v0
	s_mov_b64 s[8:9], -1
	s_and_b64 vcc, exec, s[12:13]
	s_cbranch_vccnz .LBB5_6
; %bb.2:
	s_and_saveexec_b64 s[8:9], s[0:1]
	s_cbranch_execz .LBB5_5
; %bb.3:
	v_mad_i64_i32 v[2:3], s[12:13], s10, v0, 0
	v_mad_i64_i32 v[4:5], s[12:13], s3, v0, 0
	s_mul_hi_i32 s11, s10, s2
	s_mul_i32 s10, s10, s2
	s_mul_hi_i32 s13, s3, s2
	s_mul_i32 s12, s3, s2
	v_lshl_add_u64 v[2:3], v[2:3], 2, s[6:7]
	s_lshl_b64 s[10:11], s[10:11], 2
	v_lshl_add_u64 v[4:5], v[4:5], 2, s[4:5]
	s_lshl_b64 s[12:13], s[12:13], 2
	s_mov_b64 s[14:15], 0
	v_mov_b32_e32 v1, v0
.LBB5_4:                                ; =>This Inner Loop Header: Depth=1
	global_load_dword v6, v[4:5], off
	global_load_dword v7, v[2:3], off
	v_add_u32_e32 v1, s2, v1
	v_cmp_le_i32_e32 vcc, s16, v1
	s_or_b64 s[14:15], vcc, s[14:15]
	s_waitcnt vmcnt(1)
	global_store_dword v[2:3], v6, off
	s_waitcnt vmcnt(1)
	global_store_dword v[4:5], v7, off
	v_lshl_add_u64 v[2:3], v[2:3], 0, s[10:11]
	v_lshl_add_u64 v[4:5], v[4:5], 0, s[12:13]
	s_andn2_b64 exec, exec, s[14:15]
	s_cbranch_execnz .LBB5_4
.LBB5_5:
	s_or_b64 exec, exec, s[8:9]
	s_mov_b64 s[8:9], 0
.LBB5_6:
	s_andn2_b64 vcc, exec, s[8:9]
	s_cbranch_vccnz .LBB5_10
; %bb.7:
	s_and_saveexec_b64 s[8:9], s[0:1]
	s_cbranch_execz .LBB5_10
; %bb.8:
	v_ashrrev_i32_e32 v1, 31, v0
	s_ashr_i32 s3, s2, 31
	v_lshlrev_b64 v[2:3], 2, v[0:1]
	s_lshl_b64 s[0:1], s[2:3], 2
	s_mov_b64 s[8:9], 0
.LBB5_9:                                ; =>This Inner Loop Header: Depth=1
	v_lshl_add_u64 v[6:7], s[4:5], 0, v[2:3]
	v_lshl_add_u64 v[4:5], s[6:7], 0, v[2:3]
	global_load_dword v1, v[6:7], off
	global_load_dword v8, v[4:5], off
	v_add_u32_e32 v0, s2, v0
	v_cmp_le_i32_e32 vcc, s16, v0
	v_lshl_add_u64 v[2:3], v[2:3], 0, s[0:1]
	s_or_b64 s[8:9], vcc, s[8:9]
	s_waitcnt vmcnt(1)
	global_store_dword v[4:5], v1, off
	s_waitcnt vmcnt(1)
	global_store_dword v[6:7], v8, off
	s_andn2_b64 exec, exec, s[8:9]
	s_cbranch_execnz .LBB5_9
.LBB5_10:
	s_endpgm
	.section	.rodata,"a",@progbits
	.p2align	6, 0x0
	.amdhsa_kernel _ZN9rocsolver6v33100L11swap_kernelIfiEEvT0_PT_S2_S4_S2_
		.amdhsa_group_segment_fixed_size 0
		.amdhsa_private_segment_fixed_size 0
		.amdhsa_kernarg_size 296
		.amdhsa_user_sgpr_count 2
		.amdhsa_user_sgpr_dispatch_ptr 0
		.amdhsa_user_sgpr_queue_ptr 0
		.amdhsa_user_sgpr_kernarg_segment_ptr 1
		.amdhsa_user_sgpr_dispatch_id 0
		.amdhsa_user_sgpr_kernarg_preload_length 0
		.amdhsa_user_sgpr_kernarg_preload_offset 0
		.amdhsa_user_sgpr_private_segment_size 0
		.amdhsa_uses_dynamic_stack 0
		.amdhsa_enable_private_segment 0
		.amdhsa_system_sgpr_workgroup_id_x 1
		.amdhsa_system_sgpr_workgroup_id_y 0
		.amdhsa_system_sgpr_workgroup_id_z 0
		.amdhsa_system_sgpr_workgroup_info 0
		.amdhsa_system_vgpr_workitem_id 0
		.amdhsa_next_free_vgpr 9
		.amdhsa_next_free_sgpr 17
		.amdhsa_accum_offset 12
		.amdhsa_reserve_vcc 1
		.amdhsa_float_round_mode_32 0
		.amdhsa_float_round_mode_16_64 0
		.amdhsa_float_denorm_mode_32 3
		.amdhsa_float_denorm_mode_16_64 3
		.amdhsa_dx10_clamp 1
		.amdhsa_ieee_mode 1
		.amdhsa_fp16_overflow 0
		.amdhsa_tg_split 0
		.amdhsa_exception_fp_ieee_invalid_op 0
		.amdhsa_exception_fp_denorm_src 0
		.amdhsa_exception_fp_ieee_div_zero 0
		.amdhsa_exception_fp_ieee_overflow 0
		.amdhsa_exception_fp_ieee_underflow 0
		.amdhsa_exception_fp_ieee_inexact 0
		.amdhsa_exception_int_div_zero 0
	.end_amdhsa_kernel
	.section	.text._ZN9rocsolver6v33100L11swap_kernelIfiEEvT0_PT_S2_S4_S2_,"axG",@progbits,_ZN9rocsolver6v33100L11swap_kernelIfiEEvT0_PT_S2_S4_S2_,comdat
.Lfunc_end5:
	.size	_ZN9rocsolver6v33100L11swap_kernelIfiEEvT0_PT_S2_S4_S2_, .Lfunc_end5-_ZN9rocsolver6v33100L11swap_kernelIfiEEvT0_PT_S2_S4_S2_
                                        ; -- End function
	.set _ZN9rocsolver6v33100L11swap_kernelIfiEEvT0_PT_S2_S4_S2_.num_vgpr, 9
	.set _ZN9rocsolver6v33100L11swap_kernelIfiEEvT0_PT_S2_S4_S2_.num_agpr, 0
	.set _ZN9rocsolver6v33100L11swap_kernelIfiEEvT0_PT_S2_S4_S2_.numbered_sgpr, 17
	.set _ZN9rocsolver6v33100L11swap_kernelIfiEEvT0_PT_S2_S4_S2_.num_named_barrier, 0
	.set _ZN9rocsolver6v33100L11swap_kernelIfiEEvT0_PT_S2_S4_S2_.private_seg_size, 0
	.set _ZN9rocsolver6v33100L11swap_kernelIfiEEvT0_PT_S2_S4_S2_.uses_vcc, 1
	.set _ZN9rocsolver6v33100L11swap_kernelIfiEEvT0_PT_S2_S4_S2_.uses_flat_scratch, 0
	.set _ZN9rocsolver6v33100L11swap_kernelIfiEEvT0_PT_S2_S4_S2_.has_dyn_sized_stack, 0
	.set _ZN9rocsolver6v33100L11swap_kernelIfiEEvT0_PT_S2_S4_S2_.has_recursion, 0
	.set _ZN9rocsolver6v33100L11swap_kernelIfiEEvT0_PT_S2_S4_S2_.has_indirect_call, 0
	.section	.AMDGPU.csdata,"",@progbits
; Kernel info:
; codeLenInByte = 416
; TotalNumSgprs: 23
; NumVgprs: 9
; NumAgprs: 0
; TotalNumVgprs: 9
; ScratchSize: 0
; MemoryBound: 0
; FloatMode: 240
; IeeeMode: 1
; LDSByteSize: 0 bytes/workgroup (compile time only)
; SGPRBlocks: 2
; VGPRBlocks: 1
; NumSGPRsForWavesPerEU: 23
; NumVGPRsForWavesPerEU: 9
; AccumOffset: 12
; Occupancy: 8
; WaveLimiterHint : 0
; COMPUTE_PGM_RSRC2:SCRATCH_EN: 0
; COMPUTE_PGM_RSRC2:USER_SGPR: 2
; COMPUTE_PGM_RSRC2:TRAP_HANDLER: 0
; COMPUTE_PGM_RSRC2:TGID_X_EN: 1
; COMPUTE_PGM_RSRC2:TGID_Y_EN: 0
; COMPUTE_PGM_RSRC2:TGID_Z_EN: 0
; COMPUTE_PGM_RSRC2:TIDIG_COMP_CNT: 0
; COMPUTE_PGM_RSRC3_GFX90A:ACCUM_OFFSET: 2
; COMPUTE_PGM_RSRC3_GFX90A:TG_SPLIT: 0
	.section	.text._ZN9rocsolver6v33100L12steqr_kernelIffPfEEviPT0_lS4_lT1_iilPiS4_iS3_S3_S3_,"axG",@progbits,_ZN9rocsolver6v33100L12steqr_kernelIffPfEEviPT0_lS4_lT1_iilPiS4_iS3_S3_S3_,comdat
	.globl	_ZN9rocsolver6v33100L12steqr_kernelIffPfEEviPT0_lS4_lT1_iilPiS4_iS3_S3_S3_ ; -- Begin function _ZN9rocsolver6v33100L12steqr_kernelIffPfEEviPT0_lS4_lT1_iilPiS4_iS3_S3_S3_
	.p2align	8
	.type	_ZN9rocsolver6v33100L12steqr_kernelIffPfEEviPT0_lS4_lT1_iilPiS4_iS3_S3_S3_,@function
_ZN9rocsolver6v33100L12steqr_kernelIffPfEEviPT0_lS4_lT1_iilPiS4_iS3_S3_S3_: ; @_ZN9rocsolver6v33100L12steqr_kernelIffPfEEviPT0_lS4_lT1_iilPiS4_iS3_S3_S3_
; %bb.0:
	s_mov_b32 s38, s3
	s_load_dword s3, s[0:1], 0x6c
	s_load_dword s6, s[0:1], 0x60
	s_waitcnt lgkmcnt(0)
	s_and_b32 s7, s3, 0xffff
	s_mul_i32 s2, s2, s7
	v_add_u32_e32 v0, s2, v0
	v_cmp_eq_u32_e64 s[8:9], 0, v0
	s_and_saveexec_b64 s[2:3], s[8:9]
; %bb.1:
	v_mov_b32_e32 v1, 0
	ds_write2_b32 v1, v1, v1 offset0:3 offset1:7
; %bb.2:
	s_or_b64 exec, exec, s[2:3]
	s_load_dword s10, s[0:1], 0x0
	s_load_dwordx8 s[20:27], s[0:1], 0x8
	s_load_dwordx8 s[12:19], s[0:1], 0x28
	s_load_dwordx2 s[4:5], s[0:1], 0x48
	s_load_dwordx4 s[28:31], s[0:1], 0x50
	s_ashr_i32 s39, s38, 31
	s_waitcnt lgkmcnt(0)
	s_mul_hi_u32 s0, s22, s38
	s_mul_i32 s1, s22, s39
	s_add_i32 s0, s0, s1
	s_mul_i32 s1, s23, s38
	s_add_i32 s1, s0, s1
	s_mul_i32 s0, s22, s38
	v_mov_b32_e32 v46, 0
	s_lshl_b64 s[36:37], s[0:1], 2
	s_barrier
	ds_read2_b32 v[2:3], v46 offset0:3 offset1:7
	s_add_u32 s22, s20, s36
	s_mul_hi_u32 s0, s26, s38
	s_mul_i32 s1, s26, s39
	s_addc_u32 s23, s21, s37
	s_add_i32 s0, s0, s1
	s_mul_i32 s1, s27, s38
	s_add_i32 s43, s0, s1
	s_mul_hi_u32 s0, s16, s38
	s_mul_i32 s1, s16, s39
	s_add_i32 s0, s0, s1
	s_mul_i32 s1, s17, s38
	s_add_i32 s17, s0, s1
	s_waitcnt lgkmcnt(0)
	v_cmp_gt_i32_e32 vcc, s10, v2
	v_cmp_gt_i32_e64 s[0:1], s28, v3
	s_and_b64 s[0:1], vcc, s[0:1]
	s_mul_i32 s34, s6, s7
	s_mul_i32 s42, s26, s38
	s_ashr_i32 s27, s14, 31
	s_mov_b32 s26, s14
	s_mul_i32 s16, s16, s38
	v_readfirstlane_b32 s6, v2
	s_andn2_b64 vcc, exec, s[0:1]
	s_add_i32 s40, s10, -1
	s_cbranch_vccnz .LBB6_229
; %bb.3:
	s_lshl_b32 s2, s10, 1
	s_lshl_b64 s[0:1], s[42:43], 2
	s_add_u32 s44, s24, s0
	s_addc_u32 s45, s25, s1
	s_lshl_b64 s[0:1], s[16:17], 2
	s_add_u32 s3, s12, s0
	s_addc_u32 s7, s13, s1
	s_lshl_b64 s[62:63], s[26:27], 2
	s_add_u32 s14, s3, s62
	s_mul_hi_i32 s3, s2, s38
	s_mul_i32 s2, s2, s38
	s_addc_u32 s33, s7, s63
	s_lshl_b64 s[54:55], s[2:3], 2
	s_add_u32 s46, s4, s54
	s_addc_u32 s47, s5, s55
	s_ashr_i32 s11, s10, 31
	s_ashr_i32 s49, s15, 31
	s_add_u32 s50, s20, s36
	s_addc_u32 s51, s21, s37
	s_add_u32 s98, s50, 4
	s_addc_u32 s99, s51, 0
	s_ashr_i32 s35, s34, 31
	s_lshl_b64 s[52:53], s[34:35], 2
	s_lshl_b64 s[60:61], s[10:11], 2
	s_add_u32 s7, s54, s60
	s_addc_u32 s35, s55, s61
	s_add_u32 s4, s4, s7
	s_addc_u32 s5, s5, s35
	s_add_u32 s54, s4, -8
	s_addc_u32 s55, s5, -1
	s_add_u32 s56, s46, -4
	s_addc_u32 s57, s47, -1
	;; [unrolled: 2-line block ×4, first 2 shown]
	s_add_u32 s0, s0, s62
	s_addc_u32 s1, s1, s63
	s_mov_b32 s48, s15
	s_add_u32 s0, s12, s0
	s_addc_u32 s1, s13, s1
	s_lshl_b64 s[62:63], s[48:49], 2
	s_sub_u32 s64, 0, s62
	s_subb_u32 s65, 0, s63
	v_ashrrev_i32_e32 v1, 31, v0
	s_add_u32 s66, s50, -4
	s_mov_b32 s90, 0x667f3bcd
	s_mov_b32 s72, 0.5
	v_mul_f32_e64 v47, s29, s29
	v_cmp_gt_i32_e64 s[2:3], s10, v0
	v_lshl_add_u64 v[2:3], v[0:1], 2, s[0:1]
	s_addc_u32 s67, s51, -1
	s_mov_b32 s69, 0
	s_mov_b32 s35, 0xf800000
	;; [unrolled: 1-line block ×3, first 2 shown]
	v_mov_b32_e32 v1, 0x260
	v_mov_b32_e32 v5, 2.0
	s_mov_b32 s91, 0x3ff6a09e
	s_mov_b32 s73, -0.5
                                        ; implicit-def: $vgpr50
                                        ; implicit-def: $vgpr14_vgpr15
                                        ; implicit-def: $vgpr16_vgpr17
                                        ; implicit-def: $vgpr18_vgpr19
                                        ; implicit-def: $vgpr6_vgpr7
                                        ; implicit-def: $vgpr49
                                        ; implicit-def: $vgpr12_vgpr13
                                        ; implicit-def: $vgpr48
                                        ; implicit-def: $vgpr8_vgpr9
                                        ; implicit-def: $vgpr10_vgpr11
	s_branch .LBB6_7
.LBB6_4:                                ;   in Loop: Header=BB6_7 Depth=1
	s_or_b64 exec, exec, s[0:1]
.LBB6_5:                                ;   in Loop: Header=BB6_7 Depth=1
	s_barrier
.LBB6_6:                                ;   in Loop: Header=BB6_7 Depth=1
	ds_read2_b32 v[20:21], v46 offset0:3 offset1:7
	s_waitcnt lgkmcnt(0)
	v_cmp_gt_i32_e32 vcc, s10, v20
	v_cmp_gt_i32_e64 s[0:1], s28, v21
	s_and_b64 s[0:1], vcc, s[0:1]
	s_andn2_b64 vcc, exec, s[0:1]
	v_readfirstlane_b32 s6, v20
	s_cbranch_vccnz .LBB6_229
.LBB6_7:                                ; =>This Loop Header: Depth=1
                                        ;     Child Loop BB6_15 Depth 2
                                        ;     Child Loop BB6_29 Depth 2
	;; [unrolled: 1-line block ×6, first 2 shown]
                                        ;       Child Loop BB6_67 Depth 3
                                        ;       Child Loop BB6_87 Depth 3
	;; [unrolled: 1-line block ×3, first 2 shown]
                                        ;         Child Loop BB6_135 Depth 4
                                        ;     Child Loop BB6_139 Depth 2
                                        ;       Child Loop BB6_145 Depth 3
                                        ;       Child Loop BB6_165 Depth 3
	;; [unrolled: 1-line block ×3, first 2 shown]
                                        ;         Child Loop BB6_213 Depth 4
                                        ;     Child Loop BB6_221 Depth 2
                                        ;     Child Loop BB6_228 Depth 2
	s_and_saveexec_b64 s[74:75], s[8:9]
	s_cbranch_execz .LBB6_37
; %bb.8:                                ;   in Loop: Header=BB6_7 Depth=1
	s_cmp_lt_i32 s6, 1
	s_cbranch_scc1 .LBB6_10
; %bb.9:                                ;   in Loop: Header=BB6_7 Depth=1
	s_mov_b32 s7, s69
	s_lshl_b64 s[0:1], s[6:7], 2
	s_add_u32 s0, s44, s0
	s_addc_u32 s1, s45, s1
	global_store_dword v46, v46, s[0:1] offset:-4
.LBB6_10:                               ;   in Loop: Header=BB6_7 Depth=1
	s_mov_b64 s[4:5], -1
	s_mov_b64 s[0:1], 0
	s_cmp_lt_i32 s6, s40
	s_mov_b64 s[76:77], 0
	s_cbranch_scc1 .LBB6_12
; %bb.11:                               ;   in Loop: Header=BB6_7 Depth=1
	s_ashr_i32 s7, s6, 31
	s_mov_b64 s[4:5], 0
	s_mov_b64 s[76:77], -1
.LBB6_12:                               ;   in Loop: Header=BB6_7 Depth=1
	s_andn2_b64 vcc, exec, s[4:5]
	s_cbranch_vccnz .LBB6_17
; %bb.13:                               ;   in Loop: Header=BB6_7 Depth=1
	s_ashr_i32 s7, s6, 31
	s_lshl_b64 s[0:1], s[6:7], 2
	s_add_u32 s84, s44, s0
	s_addc_u32 s85, s45, s1
	s_add_u32 s82, s98, s0
	s_addc_u32 s83, s99, s1
	s_mov_b64 s[86:87], s[6:7]
	s_branch .LBB6_15
.LBB6_14:                               ;   in Loop: Header=BB6_15 Depth=2
	s_andn2_b64 vcc, exec, s[0:1]
	s_cbranch_vccz .LBB6_18
.LBB6_15:                               ;   Parent Loop BB6_7 Depth=1
                                        ; =>  This Inner Loop Header: Depth=2
	global_load_dwordx2 v[14:15], v46, s[82:83] offset:-4
	global_load_dword v4, v46, s[84:85]
	s_mov_b64 s[78:79], s[84:85]
	s_mov_b64 s[80:81], s[86:87]
	s_mov_b64 s[88:89], -1
                                        ; implicit-def: $sgpr86_sgpr87
                                        ; implicit-def: $sgpr84_sgpr85
	s_waitcnt vmcnt(1)
	v_mul_f32_e64 v16, |v14|, s70
	v_cmp_lt_f32_e64 vcc, |v14|, s35
	v_mul_f32_e64 v17, |v15|, s70
	v_cmp_lt_f32_e64 s[0:1], |v15|, s35
	v_cndmask_b32_e64 v14, |v14|, v16, vcc
	v_sqrt_f32_e32 v16, v14
	v_cndmask_b32_e64 v15, |v15|, v17, s[0:1]
	v_sqrt_f32_e32 v17, v15
	v_add_u32_e32 v18, -1, v16
	v_fma_f32 v22, -v18, v16, v14
	v_add_u32_e32 v20, -1, v17
	v_add_u32_e32 v19, 1, v16
	v_fma_f32 v24, -v20, v17, v15
	v_cmp_ge_f32_e64 s[4:5], 0, v22
	v_add_u32_e32 v21, 1, v17
	v_fma_f32 v23, -v19, v16, v14
	v_cndmask_b32_e64 v16, v16, v18, s[4:5]
	v_cmp_ge_f32_e64 s[4:5], 0, v24
	v_fma_f32 v25, -v21, v17, v15
	s_nop 0
	v_cndmask_b32_e64 v17, v17, v20, s[4:5]
	v_cmp_lt_f32_e64 s[4:5], 0, v23
	s_nop 1
	v_cndmask_b32_e64 v16, v16, v19, s[4:5]
	v_cmp_lt_f32_e64 s[4:5], 0, v25
	v_mul_f32_e32 v18, 0x37800000, v16
	v_cndmask_b32_e32 v16, v16, v18, vcc
	v_cndmask_b32_e64 v17, v17, v21, s[4:5]
	v_mul_f32_e32 v19, 0x37800000, v17
	v_cmp_class_f32_e32 vcc, v14, v1
	v_cndmask_b32_e64 v17, v17, v19, s[0:1]
	s_nop 0
	v_cndmask_b32_e32 v14, v16, v14, vcc
	v_cmp_class_f32_e32 vcc, v15, v1
	s_nop 1
	v_cndmask_b32_e32 v15, v17, v15, vcc
	v_mul_f32_e32 v14, v14, v15
	v_mul_f32_e32 v14, s29, v14
	s_waitcnt vmcnt(0)
	v_cmp_nle_f32_e64 s[0:1], |v4|, v14
	s_and_b64 vcc, exec, s[0:1]
	s_mov_b64 s[0:1], -1
	s_cbranch_vccz .LBB6_14
; %bb.16:                               ;   in Loop: Header=BB6_15 Depth=2
	s_add_u32 s86, s80, 1
	s_addc_u32 s87, s81, 0
	s_add_u32 s84, s78, 4
	s_addc_u32 s85, s79, 0
	s_add_u32 s82, s82, 4
	s_addc_u32 s83, s83, 0
	s_cmp_ge_i32 s86, s40
	s_mov_b64 s[88:89], 0
	s_cselect_b64 s[0:1], -1, 0
	s_branch .LBB6_14
.LBB6_17:                               ;   in Loop: Header=BB6_7 Depth=1
	s_mov_b32 s41, s6
	s_mov_b64 s[4:5], s[6:7]
	s_and_b64 vcc, exec, s[76:77]
	s_cbranch_vccnz .LBB6_21
	s_branch .LBB6_22
.LBB6_18:                               ;   in Loop: Header=BB6_7 Depth=1
	s_xor_b64 s[4:5], s[88:89], -1
	s_mov_b64 s[0:1], -1
	s_and_b64 vcc, exec, s[4:5]
                                        ; implicit-def: $sgpr4_sgpr5
	s_cbranch_vccz .LBB6_20
; %bb.19:                               ;   in Loop: Header=BB6_7 Depth=1
	s_ashr_i32 s41, s40, 31
	s_mov_b64 s[76:77], -1
	s_mov_b64 s[0:1], 0
	s_mov_b64 s[4:5], s[40:41]
.LBB6_20:                               ;   in Loop: Header=BB6_7 Depth=1
	v_mov_b32_e32 v50, s80
	v_mov_b64_e32 v[14:15], s[80:81]
	v_mov_b64_e32 v[16:17], s[78:79]
	;; [unrolled: 1-line block ×3, first 2 shown]
	s_mov_b32 s41, s40
	s_and_b64 vcc, exec, s[76:77]
	s_cbranch_vccz .LBB6_22
.LBB6_21:                               ;   in Loop: Header=BB6_7 Depth=1
	v_mov_b32_e32 v4, s41
	ds_write_b32 v46, v4 offset:4
.LBB6_22:                               ;   in Loop: Header=BB6_7 Depth=1
	s_andn2_b64 vcc, exec, s[0:1]
	v_mov_b64_e32 v[20:21], s[6:7]
	v_mov_b64_e32 v[22:23], s[4:5]
	v_mov_b32_e32 v4, s41
	s_cbranch_vccnz .LBB6_24
; %bb.23:                               ;   in Loop: Header=BB6_7 Depth=1
	v_mov_b64_e32 v[20:21], v[18:19]
	v_mov_b64_e32 v[22:23], v[14:15]
	v_mov_b32_e32 v4, v50
	ds_write_b32 v46, v50 offset:4
	global_store_dword v[16:17], v46, off
.LBB6_24:                               ;   in Loop: Header=BB6_7 Depth=1
	v_lshl_add_u64 v[22:23], v[22:23], 2, s[22:23]
	v_lshl_add_u64 v[24:25], v[20:21], 2, s[22:23]
	global_load_dword v20, v[22:23], off
	global_load_dword v21, v[24:25], off
	v_mov_b32_e32 v22, s6
	ds_write2_b32 v46, v22, v4 offset1:5
	ds_write_b32 v46, v4 offset:32
	v_add_u32_e32 v22, 1, v4
	v_mov_b32_e32 v23, s6
	ds_write2_b32 v46, v22, v23 offset0:3 offset1:4
	s_waitcnt vmcnt(0)
	v_cmp_lt_f32_e64 s[4:5], |v20|, |v21|
	s_and_saveexec_b64 s[0:1], s[4:5]
; %bb.25:                               ;   in Loop: Header=BB6_7 Depth=1
	v_mov_b32_e32 v21, s6
	ds_write2_b32 v46, v4, v21 offset1:5
; %bb.26:                               ;   in Loop: Header=BB6_7 Depth=1
	s_or_b64 exec, exec, s[0:1]
	v_and_b32_e32 v26, 0x7fffffff, v20
	v_cmp_lt_i32_e32 vcc, s6, v4
	s_and_saveexec_b64 s[4:5], vcc
	s_cbranch_execz .LBB6_36
; %bb.27:                               ;   in Loop: Header=BB6_7 Depth=1
	v_subrev_u32_e32 v21, s6, v4
	v_cmp_lt_u32_e32 vcc, 1, v21
	s_mov_b64 s[78:79], -1
	v_mov_b32_e32 v20, s6
	s_and_saveexec_b64 s[76:77], vcc
	s_cbranch_execz .LBB6_31
; %bb.28:                               ;   in Loop: Header=BB6_7 Depth=1
	v_and_b32_e32 v22, -2, v21
	v_add_u32_e32 v20, -2, v22
	s_mov_b32 s7, 0
	s_mov_b64 s[80:81], 0
	v_mov_b32_e32 v25, v26
                                        ; implicit-def: $sgpr78_sgpr79
.LBB6_29:                               ;   Parent Loop BB6_7 Depth=1
                                        ; =>  This Inner Loop Header: Depth=2
	s_add_i32 s0, s6, s7
	s_ashr_i32 s1, s0, 31
	s_lshl_b64 s[0:1], s[0:1], 2
	s_add_u32 s82, s22, s0
	s_addc_u32 s83, s23, s1
	s_add_u32 s0, s44, s0
	s_addc_u32 s1, s45, s1
	global_load_dwordx2 v[28:29], v46, s[82:83]
	global_load_dwordx2 v[30:31], v46, s[0:1]
	v_mov_b32_e32 v24, v25
	v_mov_b32_e32 v23, v26
	v_max_f32_e32 v25, v24, v24
	v_max_f32_e32 v26, v23, v23
	v_cmp_eq_u32_e32 vcc, s7, v20
	v_mov_b32_e32 v27, s7
	s_add_i32 s7, s7, 2
	s_waitcnt vmcnt(1)
	v_max_f32_e64 v29, |v29|, |v29|
	s_waitcnt vmcnt(0)
	v_max_f32_e64 v31, |v31|, |v31|
	v_max_f32_e64 v28, |v28|, |v28|
	;; [unrolled: 1-line block ×3, first 2 shown]
	v_max_f32_e32 v29, v29, v31
	v_max_f32_e32 v28, v28, v30
	v_cmp_u_f32_e64 s[0:1], v29, v29
	v_max_f32_e32 v25, v25, v29
	v_max_f32_e32 v26, v26, v28
	v_cndmask_b32_e64 v29, 0, 1, s[0:1]
	v_cmp_u_f32_e64 s[0:1], v28, v28
	s_nop 1
	v_cndmask_b32_e64 v28, 0, 1, s[0:1]
	v_readfirstlane_b32 s0, v29
	v_readfirstlane_b32 s1, v28
	s_lshl_b32 s0, s0, 1
	s_or_b32 s0, s1, s0
	s_and_b32 s0, s0, 3
	s_cmp_lg_u32 s0, 0
	s_cselect_b64 s[0:1], -1, 0
	s_or_b64 s[82:83], s[0:1], vcc
	s_and_b64 s[82:83], exec, s[82:83]
	s_or_b64 s[80:81], s[82:83], s[80:81]
	s_andn2_b64 s[78:79], s[78:79], exec
	s_and_b64 s[0:1], s[0:1], exec
	s_or_b64 s[78:79], s[78:79], s[0:1]
	s_andn2_b64 exec, exec, s[80:81]
	s_cbranch_execnz .LBB6_29
; %bb.30:                               ;   in Loop: Header=BB6_7 Depth=1
	s_or_b64 exec, exec, s[80:81]
	v_cndmask_b32_e64 v20, v26, v23, s[78:79]
	v_cndmask_b32_e64 v23, v25, v24, s[78:79]
	v_cmp_ne_u32_e32 vcc, v21, v22
	v_cndmask_b32_e64 v24, v22, v27, s[78:79]
	v_max_f32_e32 v23, v23, v23
	v_max_f32_e32 v20, v20, v20
	s_or_b64 s[0:1], vcc, s[78:79]
	v_max_f32_e32 v26, v20, v23
	v_add_u32_e32 v20, s6, v24
	s_orn2_b64 s[78:79], s[0:1], exec
.LBB6_31:                               ;   in Loop: Header=BB6_7 Depth=1
	s_or_b64 exec, exec, s[76:77]
	s_and_saveexec_b64 s[0:1], s[78:79]
	s_cbranch_execz .LBB6_35
; %bb.32:                               ;   in Loop: Header=BB6_7 Depth=1
	v_ashrrev_i32_e32 v21, 31, v20
	v_lshlrev_b64 v[24:25], 2, v[20:21]
	v_lshl_add_u64 v[22:23], s[50:51], 0, v[24:25]
	v_lshl_add_u64 v[24:25], s[44:45], 0, v[24:25]
	s_mov_b64 s[6:7], 0
.LBB6_33:                               ;   Parent Loop BB6_7 Depth=1
                                        ; =>  This Inner Loop Header: Depth=2
	global_load_dword v21, v[22:23], off
	global_load_dword v27, v[24:25], off
	v_add_u32_e32 v20, 1, v20
	v_cmp_ge_i32_e32 vcc, v20, v4
	v_lshl_add_u64 v[22:23], v[22:23], 0, 4
	v_lshl_add_u64 v[24:25], v[24:25], 0, 4
	s_or_b64 s[6:7], vcc, s[6:7]
	s_waitcnt vmcnt(0)
	v_max3_f32 v26, v26, |v21|, |v27|
	s_andn2_b64 exec, exec, s[6:7]
	s_cbranch_execnz .LBB6_33
; %bb.34:                               ;   in Loop: Header=BB6_7 Depth=1
	s_or_b64 exec, exec, s[6:7]
.LBB6_35:                               ;   in Loop: Header=BB6_7 Depth=1
	s_or_b64 exec, exec, s[0:1]
.LBB6_36:                               ;   in Loop: Header=BB6_7 Depth=1
	s_or_b64 exec, exec, s[4:5]
	ds_write_b32 v46, v26 offset:24
.LBB6_37:                               ;   in Loop: Header=BB6_7 Depth=1
	s_or_b64 exec, exec, s[74:75]
	s_waitcnt lgkmcnt(0)
	s_barrier
	ds_read2_b32 v[20:21], v46 offset0:5 offset1:6
	ds_read_b32 v4, v46
	s_waitcnt lgkmcnt(1)
	v_cmp_eq_f32_e64 s[0:1], 0, v21
	s_waitcnt lgkmcnt(0)
	v_cmp_eq_u32_e32 vcc, v20, v4
	s_or_b64 s[0:1], vcc, s[0:1]
	s_and_b64 vcc, exec, s[0:1]
	s_cbranch_vccnz .LBB6_6
; %bb.38:                               ;   in Loop: Header=BB6_7 Depth=1
	v_cmp_nlt_f32_e32 vcc, s31, v21
	s_mov_b64 s[0:1], -1
	s_cbranch_vccz .LBB6_47
; %bb.39:                               ;   in Loop: Header=BB6_7 Depth=1
	v_cmp_ngt_f32_e32 vcc, s30, v21
	s_cbranch_vccnz .LBB6_46
; %bb.40:                               ;   in Loop: Header=BB6_7 Depth=1
	v_div_scale_f32 v4, s[0:1], s30, s30, v21
	v_rcp_f32_e32 v20, v4
	ds_read2_b32 v[22:23], v46 offset0:4 offset1:8
	v_fma_f32 v24, -v4, v20, 1.0
	v_fmac_f32_e32 v20, v24, v20
	v_div_scale_f32 v24, vcc, v21, s30, v21
	v_mul_f32_e32 v25, v24, v20
	v_fma_f32 v26, -v4, v25, v24
	v_fmac_f32_e32 v25, v26, v20
	v_fma_f32 v4, -v4, v25, v24
	v_div_fmas_f32 v4, v4, v20, v25
	v_div_fixup_f32 v4, v4, s30, v21
	s_and_saveexec_b64 s[0:1], s[8:9]
	s_cbranch_execz .LBB6_42
; %bb.41:                               ;   in Loop: Header=BB6_7 Depth=1
	s_waitcnt lgkmcnt(0)
	v_ashrrev_i32_e32 v25, 31, v23
	v_mov_b32_e32 v24, v23
	v_lshlrev_b64 v[24:25], 2, v[24:25]
	v_lshl_add_u64 v[24:25], s[22:23], 0, v[24:25]
	global_load_dword v20, v[24:25], off
	s_waitcnt vmcnt(0)
	v_mul_f32_e32 v20, v4, v20
	global_store_dword v[24:25], v20, off
.LBB6_42:                               ;   in Loop: Header=BB6_7 Depth=1
	s_or_b64 exec, exec, s[0:1]
	s_waitcnt lgkmcnt(0)
	v_add_u32_e32 v24, v22, v0
	v_cmp_lt_i32_e32 vcc, v24, v23
	s_and_saveexec_b64 s[0:1], vcc
	s_cbranch_execz .LBB6_45
; %bb.43:                               ;   in Loop: Header=BB6_7 Depth=1
	v_ashrrev_i32_e32 v25, 31, v24
	v_lshlrev_b64 v[26:27], 2, v[24:25]
	s_mov_b64 s[4:5], 0
.LBB6_44:                               ;   Parent Loop BB6_7 Depth=1
                                        ; =>  This Inner Loop Header: Depth=2
	v_lshl_add_u64 v[28:29], s[22:23], 0, v[26:27]
	global_load_dword v20, v[28:29], off
	v_lshl_add_u64 v[30:31], s[44:45], 0, v[26:27]
	v_add_u32_e32 v24, s34, v24
	v_cmp_ge_i32_e32 vcc, v24, v23
	v_lshl_add_u64 v[26:27], v[26:27], 0, s[52:53]
	s_or_b64 s[4:5], vcc, s[4:5]
	s_waitcnt vmcnt(0)
	v_mul_f32_e32 v20, v4, v20
	global_store_dword v[28:29], v20, off
	global_load_dword v20, v[30:31], off
	s_waitcnt vmcnt(0)
	v_mul_f32_e32 v20, v4, v20
	global_store_dword v[30:31], v20, off
	s_andn2_b64 exec, exec, s[4:5]
	s_cbranch_execnz .LBB6_44
.LBB6_45:                               ;   in Loop: Header=BB6_7 Depth=1
	s_or_b64 exec, exec, s[0:1]
.LBB6_46:                               ;   in Loop: Header=BB6_7 Depth=1
	s_mov_b64 s[0:1], 0
.LBB6_47:                               ;   in Loop: Header=BB6_7 Depth=1
	s_andn2_b64 vcc, exec, s[0:1]
	s_cbranch_vccnz .LBB6_54
; %bb.48:                               ;   in Loop: Header=BB6_7 Depth=1
	v_div_scale_f32 v4, s[0:1], s31, s31, v21
	v_rcp_f32_e32 v20, v4
	ds_read2_b32 v[22:23], v46 offset0:4 offset1:8
	v_fma_f32 v24, -v4, v20, 1.0
	v_fmac_f32_e32 v20, v24, v20
	v_div_scale_f32 v24, vcc, v21, s31, v21
	v_mul_f32_e32 v25, v24, v20
	v_fma_f32 v26, -v4, v25, v24
	v_fmac_f32_e32 v25, v26, v20
	v_fma_f32 v4, -v4, v25, v24
	v_div_fmas_f32 v4, v4, v20, v25
	v_div_fixup_f32 v4, v4, s31, v21
	s_and_saveexec_b64 s[0:1], s[8:9]
	s_cbranch_execz .LBB6_50
; %bb.49:                               ;   in Loop: Header=BB6_7 Depth=1
	s_waitcnt lgkmcnt(0)
	v_ashrrev_i32_e32 v21, 31, v23
	v_mov_b32_e32 v20, v23
	v_lshlrev_b64 v[20:21], 2, v[20:21]
	v_lshl_add_u64 v[20:21], s[22:23], 0, v[20:21]
	global_load_dword v24, v[20:21], off
	s_waitcnt vmcnt(0)
	v_mul_f32_e32 v24, v4, v24
	global_store_dword v[20:21], v24, off
.LBB6_50:                               ;   in Loop: Header=BB6_7 Depth=1
	s_or_b64 exec, exec, s[0:1]
	s_waitcnt lgkmcnt(0)
	v_add_u32_e32 v20, v22, v0
	v_cmp_lt_i32_e32 vcc, v20, v23
	s_and_saveexec_b64 s[0:1], vcc
	s_cbranch_execz .LBB6_53
; %bb.51:                               ;   in Loop: Header=BB6_7 Depth=1
	v_ashrrev_i32_e32 v21, 31, v20
	v_lshlrev_b64 v[24:25], 2, v[20:21]
	s_mov_b64 s[4:5], 0
.LBB6_52:                               ;   Parent Loop BB6_7 Depth=1
                                        ; =>  This Inner Loop Header: Depth=2
	v_lshl_add_u64 v[26:27], s[22:23], 0, v[24:25]
	global_load_dword v21, v[26:27], off
	v_lshl_add_u64 v[28:29], s[44:45], 0, v[24:25]
	v_add_u32_e32 v20, s34, v20
	v_cmp_ge_i32_e32 vcc, v20, v23
	v_lshl_add_u64 v[24:25], v[24:25], 0, s[52:53]
	s_or_b64 s[4:5], vcc, s[4:5]
	s_waitcnt vmcnt(0)
	v_mul_f32_e32 v21, v4, v21
	global_store_dword v[26:27], v21, off
	global_load_dword v21, v[28:29], off
	s_waitcnt vmcnt(0)
	v_mul_f32_e32 v21, v4, v21
	global_store_dword v[28:29], v21, off
	s_andn2_b64 exec, exec, s[4:5]
	s_cbranch_execnz .LBB6_52
.LBB6_53:                               ;   in Loop: Header=BB6_7 Depth=1
	s_or_b64 exec, exec, s[0:1]
.LBB6_54:                               ;   in Loop: Header=BB6_7 Depth=1
	s_barrier
	ds_read2_b32 v[20:21], v46 offset1:5
	ds_read_b32 v23, v46 offset:28
	s_mov_b64 s[6:7], -1
                                        ; implicit-def: $vgpr26_vgpr27
                                        ; implicit-def: $vgpr24_vgpr25
	s_waitcnt lgkmcnt(1)
	v_cmp_lt_i32_e32 vcc, v21, v20
	s_waitcnt lgkmcnt(0)
	v_cmp_gt_i32_e64 s[0:1], s28, v23
	v_mov_b32_e32 v22, v21
	s_nop 0
	v_cndmask_b32_e64 v4, 0, 1, s[0:1]
	v_cmp_ne_u32_e64 s[4:5], 1, v4
                                        ; implicit-def: $vgpr21
	s_cbranch_vccnz .LBB6_57
; %bb.55:                               ;   in Loop: Header=BB6_7 Depth=1
	s_and_b64 vcc, exec, s[4:5]
	v_mov_b64_e32 v[26:27], v[10:11]
	v_mov_b64_e32 v[24:25], v[8:9]
	v_mov_b32_e32 v21, v48
	v_mov_b32_e32 v37, v23
	;; [unrolled: 1-line block ×4, first 2 shown]
	s_cbranch_vccz .LBB6_61
.LBB6_56:                               ;   in Loop: Header=BB6_7 Depth=1
	s_mov_b64 s[6:7], 0
.LBB6_57:                               ;   in Loop: Header=BB6_7 Depth=1
	s_andn2_b64 vcc, exec, s[6:7]
	s_cbranch_vccnz .LBB6_215
; %bb.58:                               ;   in Loop: Header=BB6_7 Depth=1
	s_and_b64 vcc, exec, s[4:5]
	s_cbranch_vccz .LBB6_139
	s_branch .LBB6_216
.LBB6_59:                               ;   in Loop: Header=BB6_61 Depth=2
	s_or_b64 exec, exec, s[0:1]
	s_barrier
	ds_read_b32 v28, v46
.LBB6_60:                               ;   in Loop: Header=BB6_61 Depth=2
	ds_read2_b32 v[36:37], v46 offset0:5 offset1:7
	s_waitcnt lgkmcnt(0)
	v_cmp_le_i32_e32 vcc, v28, v36
	v_cmp_gt_i32_e64 s[0:1], s28, v37
	s_and_b64 s[0:1], vcc, s[0:1]
	s_andn2_b64 vcc, exec, s[0:1]
	s_cbranch_vccnz .LBB6_56
.LBB6_61:                               ;   Parent Loop BB6_7 Depth=1
                                        ; =>  This Loop Header: Depth=2
                                        ;       Child Loop BB6_67 Depth 3
                                        ;       Child Loop BB6_87 Depth 3
	;; [unrolled: 1-line block ×3, first 2 shown]
                                        ;         Child Loop BB6_135 Depth 4
	s_and_saveexec_b64 s[74:75], s[8:9]
	s_cbranch_execz .LBB6_130
; %bb.62:                               ;   in Loop: Header=BB6_61 Depth=2
	v_cmp_lt_i32_e32 vcc, v28, v36
	s_mov_b64 s[0:1], 0
	s_cbranch_vccnz .LBB6_64
; %bb.63:                               ;   in Loop: Header=BB6_61 Depth=2
	v_ashrrev_i32_e32 v29, 31, v28
	s_mov_b64 s[6:7], -1
	v_mov_b64_e32 v[34:35], v[28:29]
	v_mov_b32_e32 v32, v28
	s_cbranch_execz .LBB6_65
	s_branch .LBB6_70
.LBB6_64:                               ;   in Loop: Header=BB6_61 Depth=2
                                        ; implicit-def: $vgpr34_vgpr35
	s_mov_b64 s[6:7], 0
	v_mov_b32_e32 v32, v28
.LBB6_65:                               ;   in Loop: Header=BB6_61 Depth=2
	v_ashrrev_i32_e32 v29, 31, v28
	v_lshlrev_b64 v[24:25], 2, v[28:29]
	v_lshl_add_u64 v[30:31], s[44:45], 0, v[24:25]
	v_lshl_add_u64 v[26:27], s[50:51], 0, v[24:25]
	v_mov_b32_e32 v4, v28
	s_branch .LBB6_67
.LBB6_66:                               ;   in Loop: Header=BB6_67 Depth=3
	v_add_u32_e32 v4, 1, v21
	v_lshl_add_u64 v[30:31], v[24:25], 0, 4
	v_lshl_add_u64 v[26:27], v[26:27], 0, 4
	s_mov_b64 s[0:1], 0
	v_cmp_ge_i32_e64 s[6:7], v4, v36
	s_andn2_b64 vcc, exec, s[6:7]
	s_cbranch_vccz .LBB6_69
.LBB6_67:                               ;   Parent Loop BB6_7 Depth=1
                                        ;     Parent Loop BB6_61 Depth=2
                                        ; =>    This Inner Loop Header: Depth=3
	v_mov_b64_e32 v[24:25], v[30:31]
	global_load_dwordx2 v[30:31], v[26:27], off
	global_load_dword v32, v[24:25], off
	v_mov_b32_e32 v21, v4
	s_waitcnt vmcnt(1)
	v_mul_f32_e32 v4, v30, v31
	s_waitcnt vmcnt(0)
	v_mul_f32_e32 v30, v32, v32
	v_mul_f32_e64 v4, v47, |v4|
	v_cmp_le_f32_e64 s[0:1], |v30|, v4
	s_and_b64 vcc, exec, s[0:1]
	s_cbranch_vccz .LBB6_66
; %bb.68:                               ;   in Loop: Header=BB6_61 Depth=2
	s_mov_b64 s[0:1], -1
                                        ; implicit-def: $vgpr4
                                        ; implicit-def: $vgpr30_vgpr31
                                        ; implicit-def: $vgpr26_vgpr27
.LBB6_69:                               ;   in Loop: Header=BB6_61 Depth=2
	s_xor_b64 s[6:7], s[0:1], -1
	s_mov_b64 s[0:1], -1
	v_mov_b64_e32 v[26:27], v[28:29]
	v_mov_b32_e32 v32, v36
	v_mov_b64_e32 v[34:35], v[28:29]
.LBB6_70:                               ;   in Loop: Header=BB6_61 Depth=2
	s_and_b64 vcc, exec, s[6:7]
	s_cbranch_vccnz .LBB6_99
; %bb.71:                               ;   in Loop: Header=BB6_61 Depth=2
	s_andn2_b64 vcc, exec, s[0:1]
	s_cbranch_vccnz .LBB6_73
.LBB6_72:                               ;   in Loop: Header=BB6_61 Depth=2
	v_mov_b64_e32 v[34:35], v[26:27]
	v_mov_b32_e32 v32, v21
	ds_write2_b32 v46, v21, v28 offset0:1 offset1:4
	global_store_dword v[24:25], v46, off
.LBB6_73:                               ;   in Loop: Header=BB6_61 Depth=2
	v_lshl_add_u64 v[30:31], v[34:35], 2, s[22:23]
	global_load_dword v36, v[30:31], off
	v_cmp_ne_u32_e32 vcc, v32, v28
	v_add_u32_e32 v4, 1, v28
	s_waitcnt vmcnt(0)
	ds_write_b32 v46, v36 offset:8
	s_and_saveexec_b64 s[0:1], vcc
	s_xor_b64 s[76:77], exec, s[0:1]
	s_cbranch_execz .LBB6_127
; %bb.74:                               ;   in Loop: Header=BB6_61 Depth=2
	v_cmp_ne_u32_e32 vcc, v32, v4
	s_and_saveexec_b64 s[0:1], vcc
	s_xor_b64 s[6:7], exec, s[0:1]
	s_cbranch_execz .LBB6_103
; %bb.75:                               ;   in Loop: Header=BB6_61 Depth=2
	v_lshl_add_u64 v[34:35], v[34:35], 2, s[44:45]
	global_load_dword v4, v[30:31], off offset:4
	global_load_dword v38, v[34:35], off
	v_ashrrev_i32_e32 v33, 31, v32
	v_lshl_add_u64 v[40:41], v[32:33], 2, s[22:23]
	global_load_dword v29, v[40:41], off
	v_add_u32_e32 v37, 1, v37
	ds_write2_b32 v46, v46, v37 offset0:2 offset1:7
	s_waitcnt vmcnt(2)
	v_sub_f32_e32 v4, v4, v36
	s_waitcnt vmcnt(1)
	v_add_f32_e32 v39, v38, v38
	v_div_scale_f32 v42, s[0:1], v39, v39, v4
	v_rcp_f32_e32 v43, v42
	v_div_scale_f32 v44, vcc, v4, v39, v4
	v_fma_f32 v45, -v42, v43, 1.0
	v_fmac_f32_e32 v43, v45, v43
	v_mul_f32_e32 v45, v44, v43
	v_fma_f32 v51, -v42, v45, v44
	v_fmac_f32_e32 v45, v51, v43
	v_fma_f32 v42, -v42, v45, v44
	v_div_fmas_f32 v42, v42, v43, v45
	v_div_fixup_f32 v39, v42, v39, v4
	v_fma_f32 v4, v39, v39, 1.0
	v_mul_f32_e32 v42, 0x4f800000, v4
	v_cmp_gt_f32_e32 vcc, s35, v4
	s_nop 1
	v_cndmask_b32_e32 v42, v4, v42, vcc
	v_sqrt_f32_e32 v43, v42
	v_mov_b32_e32 v4, 0
	v_add_u32_e32 v37, -1, v43
	v_add_u32_e32 v44, 1, v43
	v_fma_f32 v45, -v37, v43, v42
	v_fma_f32 v51, -v44, v43, v42
	v_cmp_ge_f32_e64 s[0:1], 0, v45
	s_nop 1
	v_cndmask_b32_e64 v37, v43, v37, s[0:1]
	v_cmp_lt_f32_e64 s[0:1], 0, v51
	s_nop 1
	v_cndmask_b32_e64 v37, v37, v44, s[0:1]
	v_mul_f32_e32 v43, 0x37800000, v37
	v_cndmask_b32_e32 v37, v37, v43, vcc
	v_cmp_class_f32_e32 vcc, v42, v1
	s_waitcnt vmcnt(0)
	v_sub_f32_e32 v43, v29, v36
	v_cndmask_b32_e32 v37, v37, v42, vcc
	v_cmp_nle_f32_e32 vcc, 0, v39
	s_nop 1
	v_cndmask_b32_e64 v37, |v37|, -|v37|, vcc
	v_add_f32_e32 v37, v39, v37
	v_div_scale_f32 v39, s[0:1], v37, v37, v38
	v_rcp_f32_e32 v42, v39
	v_div_scale_f32 v44, vcc, v38, v37, v38
	v_fma_f32 v45, -v39, v42, 1.0
	v_fmac_f32_e32 v42, v45, v42
	v_mul_f32_e32 v45, v44, v42
	v_fma_f32 v51, -v39, v45, v44
	v_fmac_f32_e32 v45, v51, v42
	v_fma_f32 v39, -v39, v45, v44
	v_div_fmas_f32 v39, v39, v42, v45
	v_div_fixup_f32 v37, v39, v37, v38
	v_add_f32_e32 v37, v43, v37
	v_cmp_gt_i32_e32 vcc, v32, v28
	s_and_saveexec_b64 s[78:79], vcc
	s_cbranch_execz .LBB6_102
; %bb.76:                               ;   in Loop: Header=BB6_61 Depth=2
	v_lshl_add_u64 v[38:39], v[32:33], 2, s[44:45]
	global_load_dword v36, v[38:39], off offset:-4
	v_mov_b32_e32 v38, 0
	v_mov_b32_e32 v39, 1.0
	s_waitcnt vmcnt(0)
	v_cmp_neq_f32_e32 vcc, 0, v36
	s_and_saveexec_b64 s[80:81], vcc
	s_cbranch_execz .LBB6_84
; %bb.77:                               ;   in Loop: Header=BB6_61 Depth=2
	v_mov_b32_e32 v39, 0
	v_cmp_neq_f32_e32 vcc, 0, v37
	v_mov_b32_e32 v38, 1.0
	s_and_saveexec_b64 s[82:83], vcc
	s_cbranch_execz .LBB6_83
; %bb.78:                               ;   in Loop: Header=BB6_61 Depth=2
	v_cmp_ngt_f32_e64 s[0:1], |v36|, |v37|
                                        ; implicit-def: $vgpr39
	s_and_saveexec_b64 s[84:85], s[0:1]
	s_xor_b64 s[84:85], exec, s[84:85]
	s_cbranch_execz .LBB6_80
; %bb.79:                               ;   in Loop: Header=BB6_61 Depth=2
	v_div_scale_f32 v4, s[0:1], v37, v37, -v36
	v_rcp_f32_e32 v38, v4
	v_div_scale_f32 v39, vcc, -v36, v37, -v36
	v_fma_f32 v42, -v4, v38, 1.0
	v_fmac_f32_e32 v38, v42, v38
	v_mul_f32_e32 v42, v39, v38
	v_fma_f32 v43, -v4, v42, v39
	v_fmac_f32_e32 v42, v43, v38
	v_fma_f32 v4, -v4, v42, v39
	v_div_fmas_f32 v4, v4, v38, v42
	v_div_fixup_f32 v4, v4, v37, -v36
	v_fma_f32 v37, v4, v4, 1.0
	v_mul_f32_e32 v38, 0x4f800000, v37
	v_cmp_gt_f32_e32 vcc, s35, v37
	s_nop 1
	v_cndmask_b32_e32 v37, v37, v38, vcc
	v_sqrt_f32_e32 v38, v37
	s_nop 0
	v_add_u32_e32 v39, -1, v38
	v_fma_f32 v42, -v39, v38, v37
	v_cmp_ge_f32_e64 s[0:1], 0, v42
	v_add_u32_e32 v42, 1, v38
	s_nop 0
	v_cndmask_b32_e64 v39, v38, v39, s[0:1]
	v_fma_f32 v38, -v42, v38, v37
	v_cmp_lt_f32_e64 s[0:1], 0, v38
	s_nop 1
	v_cndmask_b32_e64 v38, v39, v42, s[0:1]
	v_mul_f32_e32 v39, 0x37800000, v38
	v_cndmask_b32_e32 v38, v38, v39, vcc
	v_cmp_class_f32_e32 vcc, v37, v1
	s_nop 1
	v_cndmask_b32_e32 v37, v38, v37, vcc
	v_div_scale_f32 v38, s[0:1], v37, v37, 1.0
	v_rcp_f32_e32 v39, v38
	s_nop 0
	v_fma_f32 v42, -v38, v39, 1.0
	v_fmac_f32_e32 v39, v42, v39
	v_div_scale_f32 v42, vcc, 1.0, v37, 1.0
	v_mul_f32_e32 v43, v42, v39
	v_fma_f32 v44, -v38, v43, v42
	v_fmac_f32_e32 v43, v44, v39
	v_fma_f32 v38, -v38, v43, v42
	v_div_fmas_f32 v38, v38, v39, v43
	v_div_fixup_f32 v39, v38, v37, 1.0
	v_mul_f32_e32 v38, v4, v39
                                        ; implicit-def: $vgpr37
.LBB6_80:                               ;   in Loop: Header=BB6_61 Depth=2
	s_andn2_saveexec_b64 s[84:85], s[84:85]
	s_cbranch_execz .LBB6_82
; %bb.81:                               ;   in Loop: Header=BB6_61 Depth=2
	v_div_scale_f32 v4, s[0:1], v36, v36, -v37
	v_rcp_f32_e32 v38, v4
	v_div_scale_f32 v39, vcc, -v37, v36, -v37
	v_fma_f32 v42, -v4, v38, 1.0
	v_fmac_f32_e32 v38, v42, v38
	v_mul_f32_e32 v42, v39, v38
	v_fma_f32 v43, -v4, v42, v39
	v_fmac_f32_e32 v42, v43, v38
	v_fma_f32 v4, -v4, v42, v39
	v_div_fmas_f32 v4, v4, v38, v42
	v_div_fixup_f32 v4, v4, v36, -v37
	v_fma_f32 v37, v4, v4, 1.0
	v_mul_f32_e32 v38, 0x4f800000, v37
	v_cmp_gt_f32_e32 vcc, s35, v37
	s_nop 1
	v_cndmask_b32_e32 v37, v37, v38, vcc
	v_sqrt_f32_e32 v38, v37
	s_nop 0
	v_add_u32_e32 v39, -1, v38
	v_fma_f32 v42, -v39, v38, v37
	v_cmp_ge_f32_e64 s[0:1], 0, v42
	v_add_u32_e32 v42, 1, v38
	s_nop 0
	v_cndmask_b32_e64 v39, v38, v39, s[0:1]
	v_fma_f32 v38, -v42, v38, v37
	v_cmp_lt_f32_e64 s[0:1], 0, v38
	s_nop 1
	v_cndmask_b32_e64 v38, v39, v42, s[0:1]
	v_mul_f32_e32 v39, 0x37800000, v38
	v_cndmask_b32_e32 v38, v38, v39, vcc
	v_cmp_class_f32_e32 vcc, v37, v1
	s_nop 1
	v_cndmask_b32_e32 v37, v38, v37, vcc
	v_div_scale_f32 v38, s[0:1], v37, v37, 1.0
	v_rcp_f32_e32 v39, v38
	s_nop 0
	v_fma_f32 v42, -v38, v39, 1.0
	v_fmac_f32_e32 v39, v42, v39
	v_div_scale_f32 v42, vcc, 1.0, v37, 1.0
	v_mul_f32_e32 v43, v42, v39
	v_fma_f32 v44, -v38, v43, v42
	v_fmac_f32_e32 v43, v44, v39
	v_fma_f32 v38, -v38, v43, v42
	v_div_fmas_f32 v38, v38, v39, v43
	v_div_fixup_f32 v38, v38, v37, 1.0
	v_mul_f32_e32 v39, v4, v38
.LBB6_82:                               ;   in Loop: Header=BB6_61 Depth=2
	s_or_b64 exec, exec, s[84:85]
.LBB6_83:                               ;   in Loop: Header=BB6_61 Depth=2
	s_or_b64 exec, exec, s[82:83]
.LBB6_84:                               ;   in Loop: Header=BB6_61 Depth=2
	s_or_b64 exec, exec, s[80:81]
	global_load_dword v4, v[40:41], off offset:-4
	v_add_u32_e32 v42, -1, v32
	v_lshl_add_u64 v[44:45], v[32:33], 2, s[46:47]
	v_lshl_add_u64 v[52:53], v[44:45], 0, -4
	v_cmp_gt_i32_e32 vcc, v42, v28
	v_lshl_add_u64 v[52:53], s[10:11], 2, v[52:53]
	s_waitcnt vmcnt(0)
	v_sub_f32_e32 v4, v4, v29
	v_pk_mul_f32 v[54:55], v[38:39], v[4:5]
	s_nop 0
	v_fma_f32 v33, v36, v55, -v54
	v_mul_f32_e64 v4, v33, -v38
	v_fma_f32 v29, v33, -v38, v29
	v_fma_f32 v37, v39, v33, -v36
	ds_write_b32 v46, v4 offset:8
	global_store_dword v[40:41], v29, off
	global_store_dword v[44:45], v39, off offset:-4
	global_store_dword v[52:53], v38, off offset:-4
	s_and_saveexec_b64 s[80:81], vcc
	s_cbranch_execz .LBB6_101
; %bb.85:                               ;   in Loop: Header=BB6_61 Depth=2
	v_ashrrev_i32_e32 v43, 31, v42
	v_xor_b32_e32 v33, 0x80000000, v38
	v_lshlrev_b64 v[40:41], 2, v[42:43]
	s_mov_b32 s41, -1
	s_mov_b64 s[82:83], 0
	s_mov_b64 s[84:85], s[58:59]
	;; [unrolled: 1-line block ×5, first 2 shown]
	s_branch .LBB6_87
.LBB6_86:                               ;   in Loop: Header=BB6_87 Depth=3
	v_lshl_add_u64 v[42:43], s[86:87], 0, v[40:41]
	global_load_dwordx2 v[36:37], v[42:43], off offset:-4
	v_lshl_add_u64 v[52:53], s[90:91], 0, v[40:41]
	s_add_u32 s90, s90, -4
	s_addc_u32 s91, s91, -1
	v_mul_f32_e32 v29, v39, v29
	v_lshl_add_u64 v[38:39], s[88:89], 0, v[40:41]
	s_add_u32 s88, s88, -4
	s_addc_u32 s89, s89, -1
	s_add_i32 s41, s41, -1
	v_add_u32_e32 v51, s41, v32
	v_cmp_le_i32_e32 vcc, v51, v28
	s_add_u32 s86, s86, -4
	s_addc_u32 s87, s87, -1
	s_add_u32 s84, s84, -4
	s_addc_u32 s85, s85, -1
	v_xor_b32_e32 v33, 0x80000000, v44
	s_or_b64 s[82:83], vcc, s[82:83]
	s_waitcnt vmcnt(0)
	v_sub_f32_e32 v51, v37, v4
	v_sub_f32_e32 v4, v36, v51
	v_pk_mul_f32 v[36:37], v[44:45], v[4:5]
	s_nop 0
	v_fma_f32 v36, v29, v37, -v36
	v_fma_f32 v51, v36, -v44, v51
	v_mul_f32_e64 v4, v36, -v44
	v_fma_f32 v37, v45, v36, -v29
	global_store_dword v[42:43], v51, off
	global_store_dword v[38:39], v45, off
	;; [unrolled: 1-line block ×3, first 2 shown]
	v_mov_b32_e32 v39, v45
	s_andn2_b64 exec, exec, s[82:83]
	s_cbranch_execz .LBB6_100
.LBB6_87:                               ;   Parent Loop BB6_7 Depth=1
                                        ;     Parent Loop BB6_61 Depth=2
                                        ; =>    This Inner Loop Header: Depth=3
	v_lshl_add_u64 v[42:43], s[84:85], 0, v[40:41]
	global_load_dword v29, v[42:43], off
	v_mov_b32_e32 v44, 0
	v_mov_b32_e32 v45, 1.0
	s_waitcnt vmcnt(0)
	v_mul_f32_e32 v36, v33, v29
	v_cmp_neq_f32_e32 vcc, 0, v36
	s_and_saveexec_b64 s[92:93], vcc
	s_cbranch_execz .LBB6_97
; %bb.88:                               ;   in Loop: Header=BB6_87 Depth=3
	v_cmp_neq_f32_e32 vcc, 0, v37
	v_xor_b32_e32 v33, 0x80000000, v36
                                        ; implicit-def: $vgpr45
	s_and_saveexec_b64 s[0:1], vcc
	s_xor_b64 s[94:95], exec, s[0:1]
	s_cbranch_execz .LBB6_94
; %bb.89:                               ;   in Loop: Header=BB6_87 Depth=3
	v_cmp_ngt_f32_e64 s[0:1], |v36|, |v37|
                                        ; implicit-def: $vgpr45
	s_and_saveexec_b64 s[96:97], s[0:1]
	s_xor_b64 s[96:97], exec, s[96:97]
	s_cbranch_execz .LBB6_91
; %bb.90:                               ;   in Loop: Header=BB6_87 Depth=3
	v_div_scale_f32 v33, s[0:1], v37, v37, -v36
	v_rcp_f32_e32 v38, v33
	v_div_scale_f32 v44, vcc, -v36, v37, -v36
	v_fma_f32 v45, -v33, v38, 1.0
	v_fmac_f32_e32 v38, v45, v38
	v_mul_f32_e32 v45, v44, v38
	v_fma_f32 v51, -v33, v45, v44
	v_fmac_f32_e32 v45, v51, v38
	v_fma_f32 v33, -v33, v45, v44
	v_div_fmas_f32 v33, v33, v38, v45
	v_div_fixup_f32 v33, v33, v37, -v36
	v_fma_f32 v38, v33, v33, 1.0
	v_mul_f32_e32 v44, 0x4f800000, v38
	v_cmp_gt_f32_e32 vcc, s35, v38
	s_nop 1
	v_cndmask_b32_e32 v38, v38, v44, vcc
	v_sqrt_f32_e32 v44, v38
	s_nop 0
	v_add_u32_e32 v45, -1, v44
	v_fma_f32 v51, -v45, v44, v38
	v_cmp_ge_f32_e64 s[0:1], 0, v51
	v_add_u32_e32 v51, 1, v44
	s_nop 0
	v_cndmask_b32_e64 v45, v44, v45, s[0:1]
	v_fma_f32 v44, -v51, v44, v38
	v_cmp_lt_f32_e64 s[0:1], 0, v44
	s_nop 1
	v_cndmask_b32_e64 v44, v45, v51, s[0:1]
	v_mul_f32_e32 v45, 0x37800000, v44
	v_cndmask_b32_e32 v44, v44, v45, vcc
	v_cmp_class_f32_e32 vcc, v38, v1
	s_nop 1
	v_cndmask_b32_e32 v38, v44, v38, vcc
	v_div_scale_f32 v44, s[0:1], v38, v38, 1.0
	v_rcp_f32_e32 v45, v44
	s_nop 0
	v_fma_f32 v51, -v44, v45, 1.0
	v_fmac_f32_e32 v45, v51, v45
	v_div_scale_f32 v51, vcc, 1.0, v38, 1.0
	v_mul_f32_e32 v52, v51, v45
	v_fma_f32 v53, -v44, v52, v51
	v_fmac_f32_e32 v52, v53, v45
	v_fma_f32 v44, -v44, v52, v51
	v_div_fmas_f32 v44, v44, v45, v52
	v_div_fixup_f32 v45, v44, v38, 1.0
	v_mul_f32_e32 v44, v33, v45
.LBB6_91:                               ;   in Loop: Header=BB6_87 Depth=3
	s_andn2_saveexec_b64 s[96:97], s[96:97]
	s_cbranch_execz .LBB6_93
; %bb.92:                               ;   in Loop: Header=BB6_87 Depth=3
	v_div_scale_f32 v33, s[0:1], v36, v36, -v37
	v_rcp_f32_e32 v38, v33
	v_div_scale_f32 v44, vcc, -v37, v36, -v37
	v_fma_f32 v45, -v33, v38, 1.0
	v_fmac_f32_e32 v38, v45, v38
	v_mul_f32_e32 v45, v44, v38
	v_fma_f32 v51, -v33, v45, v44
	v_fmac_f32_e32 v45, v51, v38
	v_fma_f32 v33, -v33, v45, v44
	v_div_fmas_f32 v33, v33, v38, v45
	v_div_fixup_f32 v33, v33, v36, -v37
	v_fma_f32 v38, v33, v33, 1.0
	v_mul_f32_e32 v44, 0x4f800000, v38
	v_cmp_gt_f32_e32 vcc, s35, v38
	s_nop 1
	v_cndmask_b32_e32 v38, v38, v44, vcc
	v_sqrt_f32_e32 v44, v38
	s_nop 0
	v_add_u32_e32 v45, -1, v44
	v_fma_f32 v51, -v45, v44, v38
	v_cmp_ge_f32_e64 s[0:1], 0, v51
	v_add_u32_e32 v51, 1, v44
	s_nop 0
	v_cndmask_b32_e64 v45, v44, v45, s[0:1]
	v_fma_f32 v44, -v51, v44, v38
	v_cmp_lt_f32_e64 s[0:1], 0, v44
	s_nop 1
	v_cndmask_b32_e64 v44, v45, v51, s[0:1]
	v_mul_f32_e32 v45, 0x37800000, v44
	v_cndmask_b32_e32 v44, v44, v45, vcc
	v_cmp_class_f32_e32 vcc, v38, v1
	s_nop 1
	v_cndmask_b32_e32 v38, v44, v38, vcc
	v_div_scale_f32 v44, s[0:1], v38, v38, 1.0
	v_rcp_f32_e32 v45, v44
	s_nop 0
	v_fma_f32 v51, -v44, v45, 1.0
	v_fmac_f32_e32 v45, v51, v45
	v_div_scale_f32 v51, vcc, 1.0, v38, 1.0
	v_mul_f32_e32 v52, v51, v45
	v_fma_f32 v53, -v44, v52, v51
	v_fmac_f32_e32 v52, v53, v45
	v_fma_f32 v44, -v44, v52, v51
	v_div_fmas_f32 v44, v44, v45, v52
	v_div_fixup_f32 v44, v44, v38, 1.0
	v_mul_f32_e32 v45, v33, v44
.LBB6_93:                               ;   in Loop: Header=BB6_87 Depth=3
	s_or_b64 exec, exec, s[96:97]
	v_pk_mul_f32 v[36:37], v[36:37], v[44:45]
	s_nop 0
	v_sub_f32_e32 v33, v37, v36
.LBB6_94:                               ;   in Loop: Header=BB6_87 Depth=3
	s_andn2_saveexec_b64 s[0:1], s[94:95]
; %bb.95:                               ;   in Loop: Header=BB6_87 Depth=3
	v_mov_b32_e32 v44, 1.0
	v_mov_b32_e32 v45, 0
; %bb.96:                               ;   in Loop: Header=BB6_87 Depth=3
	s_or_b64 exec, exec, s[0:1]
	v_mov_b32_e32 v37, v33
.LBB6_97:                               ;   in Loop: Header=BB6_87 Depth=3
	s_or_b64 exec, exec, s[92:93]
	s_cmp_eq_u32 s41, 0
	s_cbranch_scc1 .LBB6_86
; %bb.98:                               ;   in Loop: Header=BB6_87 Depth=3
	global_store_dword v[42:43], v37, off offset:4
	s_branch .LBB6_86
.LBB6_99:                               ;   in Loop: Header=BB6_61 Depth=2
	ds_write2_b32 v46, v32, v28 offset0:1 offset1:4
	s_cbranch_execz .LBB6_72
	s_branch .LBB6_73
.LBB6_100:                              ;   in Loop: Header=BB6_61 Depth=2
	s_or_b64 exec, exec, s[82:83]
	s_mov_b32 s90, 0x667f3bcd
	s_mov_b32 s91, 0x3ff6a09e
	ds_write_b32 v46, v4 offset:8
.LBB6_101:                              ;   in Loop: Header=BB6_61 Depth=2
	s_or_b64 exec, exec, s[80:81]
	global_load_dword v36, v[30:31], off
.LBB6_102:                              ;   in Loop: Header=BB6_61 Depth=2
	s_or_b64 exec, exec, s[78:79]
	s_waitcnt vmcnt(0)
	v_sub_f32_e32 v4, v36, v4
	global_store_dword v[30:31], v4, off
	global_store_dword v[34:35], v37, off
                                        ; implicit-def: $vgpr34_vgpr35
                                        ; implicit-def: $vgpr30_vgpr31
                                        ; implicit-def: $vgpr28
                                        ; implicit-def: $vgpr36
.LBB6_103:                              ;   in Loop: Header=BB6_61 Depth=2
	s_andn2_saveexec_b64 s[78:79], s[6:7]
	s_cbranch_execz .LBB6_136
; %bb.104:                              ;   in Loop: Header=BB6_61 Depth=2
	v_lshl_add_u64 v[32:33], v[34:35], 2, s[44:45]
	global_load_dword v37, v[30:31], off offset:4
	global_load_dword v39, v[32:33], off
                                        ; implicit-def: $vgpr4
	s_waitcnt vmcnt(1)
	v_sub_f32_e32 v38, v36, v37
	s_waitcnt vmcnt(0)
	v_add_f32_e32 v29, v39, v39
	v_and_b32_e32 v40, 0x7fffffff, v29
	v_cmp_ngt_f32_e64 s[0:1], |v38|, |v29|
	s_and_saveexec_b64 s[6:7], s[0:1]
	s_xor_b64 s[6:7], exec, s[6:7]
	s_cbranch_execz .LBB6_110
; %bb.105:                              ;   in Loop: Header=BB6_61 Depth=2
	v_cmp_nlt_f32_e64 s[0:1], |v38|, |v29|
                                        ; implicit-def: $vgpr4
	s_and_saveexec_b64 s[80:81], s[0:1]
	s_xor_b64 s[0:1], exec, s[80:81]
; %bb.106:                              ;   in Loop: Header=BB6_61 Depth=2
	v_cvt_f64_f32_e32 v[40:41], v40
	v_mul_f64 v[40:41], v[40:41], s[90:91]
	v_cvt_f32_f64_e32 v4, v[40:41]
                                        ; implicit-def: $vgpr40
; %bb.107:                              ;   in Loop: Header=BB6_61 Depth=2
	s_andn2_saveexec_b64 s[80:81], s[0:1]
	s_cbranch_execz .LBB6_109
; %bb.108:                              ;   in Loop: Header=BB6_61 Depth=2
	v_and_b32_e32 v4, 0x7fffffff, v38
	v_div_scale_f32 v41, s[0:1], v40, v40, v4
	v_rcp_f32_e32 v42, v41
	v_div_scale_f32 v4, vcc, v4, v40, v4
	v_fma_f32 v40, -v41, v42, 1.0
	v_fmac_f32_e32 v42, v40, v42
	v_mul_f32_e32 v40, v4, v42
	v_fma_f32 v43, -v41, v40, v4
	v_fmac_f32_e32 v40, v43, v42
	v_fma_f32 v4, -v41, v40, v4
	v_div_fmas_f32 v4, v4, v42, v40
	v_div_fixup_f32 v4, v4, |v29|, |v38|
	v_fma_f32 v4, v4, v4, 1.0
	v_mul_f32_e32 v40, 0x4f800000, v4
	v_cmp_gt_f32_e32 vcc, s35, v4
	s_nop 1
	v_cndmask_b32_e32 v4, v4, v40, vcc
	v_sqrt_f32_e32 v40, v4
	s_nop 0
	v_add_u32_e32 v41, -1, v40
	v_fma_f32 v42, -v41, v40, v4
	v_cmp_ge_f32_e64 s[0:1], 0, v42
	v_add_u32_e32 v42, 1, v40
	s_nop 0
	v_cndmask_b32_e64 v41, v40, v41, s[0:1]
	v_fma_f32 v40, -v42, v40, v4
	v_cmp_lt_f32_e64 s[0:1], 0, v40
	s_nop 1
	v_cndmask_b32_e64 v40, v41, v42, s[0:1]
	v_mul_f32_e32 v41, 0x37800000, v40
	v_cndmask_b32_e32 v40, v40, v41, vcc
	v_cmp_class_f32_e32 vcc, v4, v1
	s_nop 1
	v_cndmask_b32_e32 v4, v40, v4, vcc
	v_mul_f32_e64 v4, |v29|, v4
.LBB6_109:                              ;   in Loop: Header=BB6_61 Depth=2
	s_or_b64 exec, exec, s[80:81]
                                        ; implicit-def: $vgpr40
.LBB6_110:                              ;   in Loop: Header=BB6_61 Depth=2
	s_andn2_saveexec_b64 s[6:7], s[6:7]
	s_cbranch_execz .LBB6_112
; %bb.111:                              ;   in Loop: Header=BB6_61 Depth=2
	v_and_b32_e32 v4, 0x7fffffff, v38
	v_div_scale_f32 v41, s[0:1], v4, v4, v40
	v_rcp_f32_e32 v42, v41
	v_div_scale_f32 v4, vcc, v40, v4, v40
	v_fma_f32 v40, -v41, v42, 1.0
	v_fmac_f32_e32 v42, v40, v42
	v_mul_f32_e32 v40, v4, v42
	v_fma_f32 v43, -v41, v40, v4
	v_fmac_f32_e32 v40, v43, v42
	v_fma_f32 v4, -v41, v40, v4
	v_div_fmas_f32 v4, v4, v42, v40
	v_div_fixup_f32 v4, v4, |v38|, |v29|
	v_fma_f32 v4, v4, v4, 1.0
	v_mul_f32_e32 v40, 0x4f800000, v4
	v_cmp_gt_f32_e32 vcc, s35, v4
	s_nop 1
	v_cndmask_b32_e32 v4, v4, v40, vcc
	v_sqrt_f32_e32 v40, v4
	s_nop 0
	v_add_u32_e32 v41, -1, v40
	v_fma_f32 v42, -v41, v40, v4
	v_cmp_ge_f32_e64 s[0:1], 0, v42
	v_add_u32_e32 v42, 1, v40
	s_nop 0
	v_cndmask_b32_e64 v41, v40, v41, s[0:1]
	v_fma_f32 v40, -v42, v40, v4
	v_cmp_lt_f32_e64 s[0:1], 0, v40
	s_nop 1
	v_cndmask_b32_e64 v40, v41, v42, s[0:1]
	v_mul_f32_e32 v41, 0x37800000, v40
	v_cndmask_b32_e32 v40, v40, v41, vcc
	v_cmp_class_f32_e32 vcc, v4, v1
	s_nop 1
	v_cndmask_b32_e32 v4, v40, v4, vcc
	v_mul_f32_e64 v4, |v38|, v4
.LBB6_112:                              ;   in Loop: Header=BB6_61 Depth=2
	s_or_b64 exec, exec, s[6:7]
	v_add_f32_e32 v42, v36, v37
	v_cmp_gt_f32_e64 vcc, |v36|, |v37|
	s_nop 1
	v_cndmask_b32_e32 v41, v36, v37, vcc
	v_cndmask_b32_e32 v43, v37, v36, vcc
	v_cmp_ngt_f32_e32 vcc, 0, v42
                                        ; implicit-def: $vgpr36_vgpr37
	s_and_saveexec_b64 s[0:1], vcc
	s_xor_b64 s[0:1], exec, s[0:1]
	s_cbranch_execz .LBB6_118
; %bb.113:                              ;   in Loop: Header=BB6_61 Depth=2
	v_cmp_nlt_f32_e32 vcc, 0, v42
                                        ; implicit-def: $vgpr36_vgpr37
	s_and_saveexec_b64 s[6:7], vcc
	s_xor_b64 s[6:7], exec, s[6:7]
; %bb.114:                              ;   in Loop: Header=BB6_61 Depth=2
	v_pk_mul_f32 v[36:37], v[4:5], s[72:73] op_sel_hi:[0,1]
                                        ; implicit-def: $vgpr42
                                        ; implicit-def: $vgpr43
                                        ; implicit-def: $vgpr41
                                        ; implicit-def: $vgpr39
; %bb.115:                              ;   in Loop: Header=BB6_61 Depth=2
	s_andn2_saveexec_b64 s[6:7], s[6:7]
	s_cbranch_execz .LBB6_117
; %bb.116:                              ;   in Loop: Header=BB6_61 Depth=2
	v_add_f32_e32 v36, v42, v4
	v_mul_f32_e32 v36, 0.5, v36
	v_cvt_f64_f32_e32 v[42:43], v43
	v_cvt_f64_f32_e32 v[44:45], v36
	v_div_scale_f64 v[52:53], s[80:81], v[44:45], v[44:45], v[42:43]
	v_rcp_f64_e32 v[54:55], v[52:53]
	v_cvt_f64_f32_e32 v[40:41], v41
	v_fma_f64 v[56:57], -v[52:53], v[54:55], 1.0
	v_fmac_f64_e32 v[54:55], v[54:55], v[56:57]
	v_fma_f64 v[56:57], -v[52:53], v[54:55], 1.0
	v_fmac_f64_e32 v[54:55], v[54:55], v[56:57]
	v_div_scale_f64 v[56:57], vcc, v[42:43], v[44:45], v[42:43]
	v_mul_f64 v[58:59], v[56:57], v[54:55]
	v_fma_f64 v[52:53], -v[52:53], v[58:59], v[56:57]
	v_cvt_f64_f32_e32 v[56:57], v39
	v_div_scale_f64 v[60:61], s[80:81], v[44:45], v[44:45], v[56:57]
	v_rcp_f64_e32 v[62:63], v[60:61]
	v_div_fmas_f64 v[52:53], v[52:53], v[54:55], v[58:59]
	v_div_fixup_f64 v[42:43], v[52:53], v[44:45], v[42:43]
	v_fma_f64 v[52:53], -v[60:61], v[62:63], 1.0
	v_fmac_f64_e32 v[62:63], v[62:63], v[52:53]
	v_fma_f64 v[52:53], -v[60:61], v[62:63], 1.0
	v_fmac_f64_e32 v[62:63], v[62:63], v[52:53]
	v_div_scale_f64 v[52:53], vcc, v[56:57], v[44:45], v[56:57]
	v_mul_f64 v[54:55], v[52:53], v[62:63]
	v_fma_f64 v[52:53], -v[60:61], v[54:55], v[52:53]
	s_nop 1
	v_div_fmas_f64 v[52:53], v[52:53], v[62:63], v[54:55]
	v_div_fixup_f64 v[44:45], v[52:53], v[44:45], v[56:57]
	v_mul_f64 v[44:45], v[44:45], v[56:57]
	v_fma_f64 v[40:41], v[42:43], v[40:41], -v[44:45]
	v_cvt_f32_f64_e32 v37, v[40:41]
.LBB6_117:                              ;   in Loop: Header=BB6_61 Depth=2
	s_or_b64 exec, exec, s[6:7]
                                        ; implicit-def: $vgpr42
                                        ; implicit-def: $vgpr43
                                        ; implicit-def: $vgpr41
                                        ; implicit-def: $vgpr39
.LBB6_118:                              ;   in Loop: Header=BB6_61 Depth=2
	s_or_saveexec_b64 s[0:1], s[0:1]
	v_mov_b32_e32 v40, 1
	s_xor_b64 exec, exec, s[0:1]
	s_cbranch_execz .LBB6_120
; %bb.119:                              ;   in Loop: Header=BB6_61 Depth=2
	v_sub_f32_e32 v36, v42, v4
	v_mul_f32_e32 v36, 0.5, v36
	v_cvt_f64_f32_e32 v[42:43], v43
	v_cvt_f64_f32_e32 v[44:45], v36
	v_div_scale_f64 v[52:53], s[6:7], v[44:45], v[44:45], v[42:43]
	v_rcp_f64_e32 v[54:55], v[52:53]
	v_cvt_f64_f32_e32 v[40:41], v41
	v_fma_f64 v[56:57], -v[52:53], v[54:55], 1.0
	v_fmac_f64_e32 v[54:55], v[54:55], v[56:57]
	v_fma_f64 v[56:57], -v[52:53], v[54:55], 1.0
	v_fmac_f64_e32 v[54:55], v[54:55], v[56:57]
	v_div_scale_f64 v[56:57], vcc, v[42:43], v[44:45], v[42:43]
	v_mul_f64 v[58:59], v[56:57], v[54:55]
	v_fma_f64 v[52:53], -v[52:53], v[58:59], v[56:57]
	v_cvt_f64_f32_e32 v[56:57], v39
	v_div_scale_f64 v[60:61], s[6:7], v[44:45], v[44:45], v[56:57]
	v_rcp_f64_e32 v[62:63], v[60:61]
	v_div_fmas_f64 v[52:53], v[52:53], v[54:55], v[58:59]
	v_div_fixup_f64 v[42:43], v[52:53], v[44:45], v[42:43]
	v_fma_f64 v[52:53], -v[60:61], v[62:63], 1.0
	v_fmac_f64_e32 v[62:63], v[62:63], v[52:53]
	v_fma_f64 v[52:53], -v[60:61], v[62:63], 1.0
	v_fmac_f64_e32 v[62:63], v[62:63], v[52:53]
	v_div_scale_f64 v[52:53], vcc, v[56:57], v[44:45], v[56:57]
	v_mul_f64 v[54:55], v[52:53], v[62:63]
	v_fma_f64 v[52:53], -v[60:61], v[54:55], v[52:53]
	s_nop 1
	v_div_fmas_f64 v[52:53], v[52:53], v[62:63], v[54:55]
	v_div_fixup_f64 v[44:45], v[52:53], v[44:45], v[56:57]
	v_mul_f64 v[44:45], v[44:45], v[56:57]
	v_fma_f64 v[40:41], v[42:43], v[40:41], -v[44:45]
	v_cvt_f32_f64_e32 v37, v[40:41]
	v_mov_b32_e32 v40, -1
.LBB6_120:                              ;   in Loop: Header=BB6_61 Depth=2
	s_or_b64 exec, exec, s[0:1]
	v_cmp_nle_f32_e64 s[6:7], 0, v38
                                        ; implicit-def: $vgpr39
	s_nop 1
	v_cndmask_b32_e64 v4, v4, -v4, s[6:7]
	v_add_f32_e32 v4, v38, v4
	v_cmp_ngt_f32_e64 s[0:1], |v4|, |v29|
                                        ; implicit-def: $vgpr38
	s_and_saveexec_b64 s[80:81], s[0:1]
	s_xor_b64 s[80:81], exec, s[80:81]
	s_cbranch_execz .LBB6_124
; %bb.121:                              ;   in Loop: Header=BB6_61 Depth=2
	v_mov_b32_e32 v38, 0
	v_cmp_neq_f32_e32 vcc, 0, v29
	v_mov_b32_e32 v39, 1.0
	s_and_saveexec_b64 s[82:83], vcc
	s_cbranch_execz .LBB6_123
; %bb.122:                              ;   in Loop: Header=BB6_61 Depth=2
	v_div_scale_f32 v38, s[0:1], v29, v29, -v4
	v_rcp_f32_e32 v39, v38
	v_div_scale_f32 v41, vcc, -v4, v29, -v4
	v_fma_f32 v42, -v38, v39, 1.0
	v_fmac_f32_e32 v39, v42, v39
	v_mul_f32_e32 v42, v41, v39
	v_fma_f32 v43, -v38, v42, v41
	v_fmac_f32_e32 v42, v43, v39
	v_fma_f32 v38, -v38, v42, v41
	v_div_fmas_f32 v38, v38, v39, v42
	v_div_fixup_f32 v4, v38, v29, -v4
	v_fma_f32 v29, v4, v4, 1.0
	v_mul_f32_e32 v38, 0x4f800000, v29
	v_cmp_gt_f32_e32 vcc, s35, v29
	s_nop 1
	v_cndmask_b32_e32 v29, v29, v38, vcc
	v_sqrt_f32_e32 v38, v29
	s_nop 0
	v_add_u32_e32 v39, -1, v38
	v_fma_f32 v41, -v39, v38, v29
	v_cmp_ge_f32_e64 s[0:1], 0, v41
	v_add_u32_e32 v41, 1, v38
	s_nop 0
	v_cndmask_b32_e64 v39, v38, v39, s[0:1]
	v_fma_f32 v38, -v41, v38, v29
	v_cmp_lt_f32_e64 s[0:1], 0, v38
	s_nop 1
	v_cndmask_b32_e64 v38, v39, v41, s[0:1]
	v_mul_f32_e32 v39, 0x37800000, v38
	v_cndmask_b32_e32 v38, v38, v39, vcc
	v_cmp_class_f32_e32 vcc, v29, v1
	s_nop 1
	v_cndmask_b32_e32 v29, v38, v29, vcc
	v_div_scale_f32 v38, s[0:1], v29, v29, 1.0
	v_rcp_f32_e32 v39, v38
	s_nop 0
	v_fma_f32 v41, -v38, v39, 1.0
	v_fmac_f32_e32 v39, v41, v39
	v_div_scale_f32 v41, vcc, 1.0, v29, 1.0
	v_mul_f32_e32 v42, v41, v39
	v_fma_f32 v43, -v38, v42, v41
	v_fmac_f32_e32 v42, v43, v39
	v_fma_f32 v38, -v38, v42, v41
	v_div_fmas_f32 v38, v38, v39, v42
	v_div_fixup_f32 v39, v38, v29, 1.0
	v_mul_f32_e32 v38, v4, v39
.LBB6_123:                              ;   in Loop: Header=BB6_61 Depth=2
	s_or_b64 exec, exec, s[82:83]
                                        ; implicit-def: $vgpr4
                                        ; implicit-def: $vgpr29
.LBB6_124:                              ;   in Loop: Header=BB6_61 Depth=2
	s_andn2_saveexec_b64 s[80:81], s[80:81]
	s_cbranch_execz .LBB6_126
; %bb.125:                              ;   in Loop: Header=BB6_61 Depth=2
	v_div_scale_f32 v38, s[0:1], v4, v4, -v29
	v_rcp_f32_e32 v39, v38
	v_div_scale_f32 v41, vcc, -v29, v4, -v29
	v_fma_f32 v42, -v38, v39, 1.0
	v_fmac_f32_e32 v39, v42, v39
	v_mul_f32_e32 v42, v41, v39
	v_fma_f32 v43, -v38, v42, v41
	v_fmac_f32_e32 v42, v43, v39
	v_fma_f32 v38, -v38, v42, v41
	v_div_fmas_f32 v38, v38, v39, v42
	v_div_fixup_f32 v4, v38, v4, -v29
	v_fma_f32 v29, v4, v4, 1.0
	v_mul_f32_e32 v38, 0x4f800000, v29
	v_cmp_gt_f32_e32 vcc, s35, v29
	s_nop 1
	v_cndmask_b32_e32 v29, v29, v38, vcc
	v_sqrt_f32_e32 v38, v29
	s_nop 0
	v_add_u32_e32 v39, -1, v38
	v_fma_f32 v41, -v39, v38, v29
	v_cmp_ge_f32_e64 s[0:1], 0, v41
	v_add_u32_e32 v41, 1, v38
	s_nop 0
	v_cndmask_b32_e64 v39, v38, v39, s[0:1]
	v_fma_f32 v38, -v41, v38, v29
	v_cmp_lt_f32_e64 s[0:1], 0, v38
	s_nop 1
	v_cndmask_b32_e64 v38, v39, v41, s[0:1]
	v_mul_f32_e32 v39, 0x37800000, v38
	v_cndmask_b32_e32 v38, v38, v39, vcc
	v_cmp_class_f32_e32 vcc, v29, v1
	s_nop 1
	v_cndmask_b32_e32 v29, v38, v29, vcc
	v_div_scale_f32 v38, s[0:1], v29, v29, 1.0
	v_rcp_f32_e32 v39, v38
	s_nop 0
	v_fma_f32 v41, -v38, v39, 1.0
	v_fmac_f32_e32 v39, v41, v39
	v_div_scale_f32 v41, vcc, 1.0, v29, 1.0
	v_mul_f32_e32 v42, v41, v39
	v_fma_f32 v43, -v38, v42, v41
	v_fmac_f32_e32 v42, v43, v39
	v_fma_f32 v38, -v38, v42, v41
	v_div_fmas_f32 v38, v38, v39, v42
	v_div_fixup_f32 v38, v38, v29, 1.0
	v_mul_f32_e32 v39, v4, v38
.LBB6_126:                              ;   in Loop: Header=BB6_61 Depth=2
	s_or_b64 exec, exec, s[80:81]
	v_cndmask_b32_e64 v4, 1, -1, s[6:7]
	v_cmp_eq_u32_e32 vcc, v40, v4
	v_lshl_add_u64 v[34:35], v[34:35], 2, s[46:47]
	s_nop 0
	v_cndmask_b32_e64 v29, v39, -v38, vcc
	v_cndmask_b32_e32 v4, v38, v39, vcc
	global_store_dword v[34:35], v29, off
	v_lshl_add_u64 v[34:35], s[10:11], 2, v[34:35]
	global_store_dword v[34:35], v4, off offset:-4
	global_store_dwordx2 v[30:31], v[36:37], off
	global_store_dword v[32:33], v46, off
	v_add_u32_e32 v4, 2, v28
	ds_write_b32 v46, v4
	s_or_b64 exec, exec, s[78:79]
                                        ; implicit-def: $vgpr4
.LBB6_127:                              ;   in Loop: Header=BB6_61 Depth=2
	s_andn2_saveexec_b64 s[0:1], s[76:77]
.LBB6_128:                              ;   in Loop: Header=BB6_61 Depth=2
	ds_write_b32 v46, v4
.LBB6_129:                              ;   in Loop: Header=BB6_61 Depth=2
	s_or_b64 exec, exec, s[0:1]
.LBB6_130:                              ;   in Loop: Header=BB6_61 Depth=2
	s_or_b64 exec, exec, s[74:75]
	s_waitcnt lgkmcnt(0)
	s_barrier
	ds_read_b64 v[28:29], v46
	s_waitcnt lgkmcnt(0)
	v_readfirstlane_b32 s41, v29
	s_nop 1
	v_cmp_eq_u32_e32 vcc, s41, v28
	v_mov_b32_e32 v28, s41
	s_cbranch_vccnz .LBB6_60
; %bb.131:                              ;   in Loop: Header=BB6_61 Depth=2
	s_and_saveexec_b64 s[0:1], s[2:3]
	s_cbranch_execz .LBB6_59
; %bb.132:                              ;   in Loop: Header=BB6_61 Depth=2
	ds_read_b32 v28, v46 offset:16
	v_mov_b32_e32 v32, v0
	s_waitcnt lgkmcnt(0)
	v_readfirstlane_b32 s68, v28
	s_mul_i32 s6, s68, s15
	s_ashr_i32 s7, s6, 31
	s_lshl_b64 s[78:79], s[6:7], 2
	s_add_u32 s6, s14, s78
	s_addc_u32 s7, s33, s79
	s_sub_i32 s41, s41, s68
	s_mul_hi_i32 s75, s41, s48
	s_mul_i32 s74, s41, s48
	s_lshl_b64 s[74:75], s[74:75], 2
	s_add_u32 s74, s6, s74
	s_addc_u32 s75, s7, s75
	s_cmp_gt_i32 s41, 0
	v_ashrrev_i32_e32 v29, 31, v28
	s_cselect_b64 s[76:77], -1, 0
	s_add_i32 s68, s41, -1
	v_lshlrev_b64 v[28:29], 2, v[28:29]
	s_lshl_b64 s[80:81], s[68:69], 2
	v_lshl_add_u64 v[28:29], v[28:29], 0, s[80:81]
	s_mul_i32 s71, s63, s68
	s_mul_hi_u32 s80, s62, s68
	s_add_i32 s80, s80, s71
	s_mul_i32 s68, s62, s68
	s_add_u32 s78, s68, s78
	s_addc_u32 s79, s80, s79
	v_lshl_add_u64 v[28:29], s[46:47], 0, v[28:29]
	v_lshl_add_u64 v[30:31], v[2:3], 0, s[78:79]
	s_mov_b64 s[78:79], 0
	s_branch .LBB6_134
.LBB6_133:                              ;   in Loop: Header=BB6_134 Depth=3
	v_add_u32_e32 v32, s34, v32
	v_cmp_le_i32_e32 vcc, s10, v32
	s_or_b64 s[78:79], vcc, s[78:79]
	v_lshl_add_u64 v[30:31], v[30:31], 0, s[52:53]
	s_waitcnt vmcnt(0)
	global_store_dword v[34:35], v36, off
	s_andn2_b64 exec, exec, s[78:79]
	s_cbranch_execz .LBB6_59
.LBB6_134:                              ;   Parent Loop BB6_7 Depth=1
                                        ;     Parent Loop BB6_61 Depth=2
                                        ; =>    This Loop Header: Depth=3
                                        ;         Child Loop BB6_135 Depth 4
	v_ashrrev_i32_e32 v33, 31, v32
	v_lshlrev_b64 v[34:35], 2, v[32:33]
	v_lshl_add_u64 v[36:37], s[74:75], 0, v[34:35]
	global_load_dword v36, v[36:37], off
	v_lshl_add_u64 v[34:35], s[6:7], 0, v[34:35]
	s_andn2_b64 vcc, exec, s[76:77]
	v_mov_b64_e32 v[38:39], v[30:31]
	v_mov_b64_e32 v[40:41], v[28:29]
	s_mov_b32 s68, s41
	s_cbranch_vccnz .LBB6_133
.LBB6_135:                              ;   Parent Loop BB6_7 Depth=1
                                        ;     Parent Loop BB6_61 Depth=2
                                        ;       Parent Loop BB6_134 Depth=3
                                        ; =>      This Inner Loop Header: Depth=4
	global_load_dword v42, v[40:41], off
	v_lshl_add_u64 v[44:45], v[40:41], 0, s[60:61]
	global_load_dword v43, v[38:39], off
	global_load_dword v37, v[44:45], off
	s_mul_i32 s81, s68, s49
	s_mul_hi_u32 s82, s68, s48
	s_waitcnt vmcnt(3)
	v_mov_b32_e32 v44, v36
	s_add_i32 s71, s68, -1
	s_mul_i32 s80, s68, s48
	s_add_i32 s81, s82, s81
	v_lshl_add_u64 v[40:41], v[40:41], 0, -4
	v_lshl_add_u64 v[38:39], v[38:39], 0, s[64:65]
	s_mov_b32 s68, s71
	v_lshl_add_u64 v[52:53], s[80:81], 2, v[34:35]
	s_cmp_eq_u32 s71, 0
	s_waitcnt vmcnt(2)
	v_mov_b32_e32 v45, v42
	s_waitcnt vmcnt(0)
	v_pk_mul_f32 v[54:55], v[36:37], v[42:43]
	v_mov_b32_e32 v42, v37
	v_pk_mul_f32 v[36:37], v[44:45], v[42:43]
	v_sub_f32_e32 v4, v54, v55
	v_add_f32_e32 v36, v36, v37
	global_store_dword v[52:53], v4, off
	s_cbranch_scc0 .LBB6_135
	s_branch .LBB6_133
.LBB6_136:                              ;   in Loop: Header=BB6_61 Depth=2
	s_or_b64 exec, exec, s[78:79]
                                        ; implicit-def: $vgpr4
	s_andn2_saveexec_b64 s[0:1], s[76:77]
	s_cbranch_execnz .LBB6_128
	s_branch .LBB6_129
.LBB6_137:                              ;   in Loop: Header=BB6_139 Depth=2
	s_or_b64 exec, exec, s[0:1]
	s_barrier
	ds_read_b32 v20, v46
.LBB6_138:                              ;   in Loop: Header=BB6_139 Depth=2
	ds_read2_b32 v[22:23], v46 offset0:5 offset1:7
	s_waitcnt lgkmcnt(0)
	v_cmp_ge_i32_e32 vcc, v20, v22
	v_cmp_gt_i32_e64 s[0:1], s28, v23
	s_and_b64 s[0:1], vcc, s[0:1]
	s_andn2_b64 vcc, exec, s[0:1]
	s_cbranch_vccnz .LBB6_216
.LBB6_139:                              ;   Parent Loop BB6_7 Depth=1
                                        ; =>  This Loop Header: Depth=2
                                        ;       Child Loop BB6_145 Depth 3
                                        ;       Child Loop BB6_165 Depth 3
                                        ;       Child Loop BB6_212 Depth 3
                                        ;         Child Loop BB6_213 Depth 4
	s_and_saveexec_b64 s[6:7], s[8:9]
	s_cbranch_execz .LBB6_208
; %bb.140:                              ;   in Loop: Header=BB6_139 Depth=2
	v_cmp_gt_i32_e32 vcc, v20, v22
	s_mov_b64 s[0:1], 0
	s_cbranch_vccnz .LBB6_142
; %bb.141:                              ;   in Loop: Header=BB6_139 Depth=2
	v_ashrrev_i32_e32 v21, 31, v20
	s_mov_b64 s[4:5], -1
	v_mov_b64_e32 v[28:29], v[20:21]
	v_mov_b32_e32 v24, v20
	s_cbranch_execz .LBB6_143
	s_branch .LBB6_148
.LBB6_142:                              ;   in Loop: Header=BB6_139 Depth=2
                                        ; implicit-def: $vgpr28_vgpr29
	s_mov_b64 s[4:5], 0
	v_mov_b32_e32 v24, v20
.LBB6_143:                              ;   in Loop: Header=BB6_139 Depth=2
	v_ashrrev_i32_e32 v21, 31, v20
	v_lshlrev_b64 v[12:13], 2, v[20:21]
	v_lshl_add_u64 v[6:7], s[44:45], 0, v[12:13]
	v_lshl_add_u64 v[12:13], s[66:67], 0, v[12:13]
	v_mov_b32_e32 v4, v20
	s_branch .LBB6_145
.LBB6_144:                              ;   in Loop: Header=BB6_145 Depth=3
	v_add_u32_e32 v4, -1, v49
	v_lshl_add_u64 v[12:13], v[12:13], 0, -4
	s_mov_b64 s[0:1], 0
	v_cmp_le_i32_e64 s[4:5], v4, v22
	s_andn2_b64 vcc, exec, s[4:5]
	v_lshl_add_u64 v[6:7], v[6:7], 0, -4
	s_cbranch_vccz .LBB6_147
.LBB6_145:                              ;   Parent Loop BB6_7 Depth=1
                                        ;     Parent Loop BB6_139 Depth=2
                                        ; =>    This Inner Loop Header: Depth=3
	global_load_dword v26, v[6:7], off offset:-4
	global_load_dwordx2 v[24:25], v[12:13], off
	v_mov_b32_e32 v49, v4
	s_waitcnt vmcnt(1)
	v_mul_f32_e32 v4, v26, v26
	s_waitcnt vmcnt(0)
	v_mul_f32_e32 v24, v25, v24
	v_mul_f32_e64 v24, v47, |v24|
	v_cmp_le_f32_e64 s[0:1], |v4|, v24
	s_and_b64 vcc, exec, s[0:1]
	s_cbranch_vccz .LBB6_144
; %bb.146:                              ;   in Loop: Header=BB6_139 Depth=2
	s_mov_b64 s[0:1], -1
                                        ; implicit-def: $vgpr4
                                        ; implicit-def: $vgpr12_vgpr13
	v_lshl_add_u64 v[6:7], v[6:7], 0, -4
.LBB6_147:                              ;   in Loop: Header=BB6_139 Depth=2
	s_xor_b64 s[4:5], s[0:1], -1
	s_mov_b64 s[0:1], -1
	v_mov_b64_e32 v[12:13], v[20:21]
	v_mov_b32_e32 v24, v22
	v_mov_b64_e32 v[28:29], v[20:21]
.LBB6_148:                              ;   in Loop: Header=BB6_139 Depth=2
	s_and_b64 vcc, exec, s[4:5]
	s_cbranch_vccnz .LBB6_177
; %bb.149:                              ;   in Loop: Header=BB6_139 Depth=2
	s_andn2_b64 vcc, exec, s[0:1]
	s_cbranch_vccnz .LBB6_151
.LBB6_150:                              ;   in Loop: Header=BB6_139 Depth=2
	v_mov_b64_e32 v[28:29], v[12:13]
	v_mov_b32_e32 v24, v49
	ds_write2_b32 v46, v49, v20 offset0:1 offset1:4
	global_store_dword v[6:7], v46, off
.LBB6_151:                              ;   in Loop: Header=BB6_139 Depth=2
	v_lshl_add_u64 v[26:27], v[28:29], 2, s[22:23]
	global_load_dword v22, v[26:27], off
	v_cmp_ne_u32_e32 vcc, v24, v20
	v_add_u32_e32 v4, -1, v20
	s_waitcnt vmcnt(0)
	ds_write_b32 v46, v22 offset:8
	s_and_saveexec_b64 s[0:1], vcc
	s_xor_b64 s[74:75], exec, s[0:1]
	s_cbranch_execz .LBB6_205
; %bb.152:                              ;   in Loop: Header=BB6_139 Depth=2
	v_cmp_ne_u32_e32 vcc, v24, v4
	s_and_saveexec_b64 s[0:1], vcc
	s_xor_b64 s[4:5], exec, s[0:1]
	s_cbranch_execz .LBB6_181
; %bb.153:                              ;   in Loop: Header=BB6_139 Depth=2
	v_lshl_add_u64 v[28:29], v[28:29], 2, s[44:45]
	global_load_dword v4, v[26:27], off offset:-4
	global_load_dword v30, v[28:29], off offset:-4
	v_ashrrev_i32_e32 v25, 31, v24
	v_lshl_add_u64 v[32:33], v[24:25], 2, s[22:23]
	global_load_dword v21, v[32:33], off
	v_add_u32_e32 v23, 1, v23
	ds_write2_b32 v46, v46, v23 offset0:2 offset1:7
	s_waitcnt vmcnt(2)
	v_sub_f32_e32 v4, v4, v22
	s_waitcnt vmcnt(1)
	v_add_f32_e32 v31, v30, v30
	v_div_scale_f32 v34, s[0:1], v31, v31, v4
	v_rcp_f32_e32 v35, v34
	v_div_scale_f32 v36, vcc, v4, v31, v4
	v_fma_f32 v37, -v34, v35, 1.0
	v_fmac_f32_e32 v35, v37, v35
	v_mul_f32_e32 v37, v36, v35
	v_fma_f32 v38, -v34, v37, v36
	v_fmac_f32_e32 v37, v38, v35
	v_fma_f32 v34, -v34, v37, v36
	v_div_fmas_f32 v34, v34, v35, v37
	v_div_fixup_f32 v31, v34, v31, v4
	v_fma_f32 v4, v31, v31, 1.0
	v_mul_f32_e32 v34, 0x4f800000, v4
	v_cmp_gt_f32_e32 vcc, s35, v4
	s_nop 1
	v_cndmask_b32_e32 v34, v4, v34, vcc
	v_sqrt_f32_e32 v35, v34
	v_mov_b32_e32 v4, 0
	v_add_u32_e32 v23, -1, v35
	v_add_u32_e32 v36, 1, v35
	v_fma_f32 v37, -v23, v35, v34
	v_fma_f32 v38, -v36, v35, v34
	v_cmp_ge_f32_e64 s[0:1], 0, v37
	s_nop 1
	v_cndmask_b32_e64 v23, v35, v23, s[0:1]
	v_cmp_lt_f32_e64 s[0:1], 0, v38
	s_nop 1
	v_cndmask_b32_e64 v23, v23, v36, s[0:1]
	v_mul_f32_e32 v35, 0x37800000, v23
	v_cndmask_b32_e32 v23, v23, v35, vcc
	v_cmp_class_f32_e32 vcc, v34, v1
	s_waitcnt vmcnt(0)
	v_sub_f32_e32 v35, v21, v22
	v_cndmask_b32_e32 v23, v23, v34, vcc
	v_cmp_nle_f32_e32 vcc, 0, v31
	s_nop 1
	v_cndmask_b32_e64 v23, |v23|, -|v23|, vcc
	v_add_f32_e32 v23, v31, v23
	v_div_scale_f32 v31, s[0:1], v23, v23, v30
	v_rcp_f32_e32 v34, v31
	v_div_scale_f32 v36, vcc, v30, v23, v30
	v_fma_f32 v37, -v31, v34, 1.0
	v_fmac_f32_e32 v34, v37, v34
	v_mul_f32_e32 v37, v36, v34
	v_fma_f32 v38, -v31, v37, v36
	v_fmac_f32_e32 v37, v38, v34
	v_fma_f32 v31, -v31, v37, v36
	v_div_fmas_f32 v31, v31, v34, v37
	v_div_fixup_f32 v23, v31, v23, v30
	v_add_f32_e32 v31, v35, v23
	v_cmp_lt_i32_e32 vcc, v24, v20
	s_and_saveexec_b64 s[76:77], vcc
	s_cbranch_execz .LBB6_180
; %bb.154:                              ;   in Loop: Header=BB6_139 Depth=2
	v_lshl_add_u64 v[22:23], v[24:25], 2, s[44:45]
	global_load_dword v30, v[22:23], off
	v_mov_b32_e32 v22, 0
	v_mov_b32_e32 v23, 1.0
	s_waitcnt vmcnt(0)
	v_cmp_neq_f32_e32 vcc, 0, v30
	s_and_saveexec_b64 s[78:79], vcc
	s_cbranch_execz .LBB6_162
; %bb.155:                              ;   in Loop: Header=BB6_139 Depth=2
	v_mov_b32_e32 v23, 0
	v_cmp_neq_f32_e32 vcc, 0, v31
	v_mov_b32_e32 v22, 1.0
	s_and_saveexec_b64 s[80:81], vcc
	s_cbranch_execz .LBB6_161
; %bb.156:                              ;   in Loop: Header=BB6_139 Depth=2
	v_cmp_ngt_f32_e64 s[0:1], |v30|, |v31|
                                        ; implicit-def: $vgpr23
	s_and_saveexec_b64 s[82:83], s[0:1]
	s_xor_b64 s[82:83], exec, s[82:83]
	s_cbranch_execz .LBB6_158
; %bb.157:                              ;   in Loop: Header=BB6_139 Depth=2
	v_div_scale_f32 v4, s[0:1], v31, v31, -v30
	v_rcp_f32_e32 v22, v4
	v_div_scale_f32 v23, vcc, -v30, v31, -v30
	v_fma_f32 v34, -v4, v22, 1.0
	v_fmac_f32_e32 v22, v34, v22
	v_mul_f32_e32 v34, v23, v22
	v_fma_f32 v35, -v4, v34, v23
	v_fmac_f32_e32 v34, v35, v22
	v_fma_f32 v4, -v4, v34, v23
	v_div_fmas_f32 v4, v4, v22, v34
	v_div_fixup_f32 v4, v4, v31, -v30
	v_fma_f32 v22, v4, v4, 1.0
	v_mul_f32_e32 v23, 0x4f800000, v22
	v_cmp_gt_f32_e32 vcc, s35, v22
	s_nop 1
	v_cndmask_b32_e32 v22, v22, v23, vcc
	v_sqrt_f32_e32 v23, v22
	s_nop 0
	v_add_u32_e32 v31, -1, v23
	v_fma_f32 v34, -v31, v23, v22
	v_cmp_ge_f32_e64 s[0:1], 0, v34
	v_add_u32_e32 v34, 1, v23
	s_nop 0
	v_cndmask_b32_e64 v31, v23, v31, s[0:1]
	v_fma_f32 v23, -v34, v23, v22
	v_cmp_lt_f32_e64 s[0:1], 0, v23
	s_nop 1
	v_cndmask_b32_e64 v23, v31, v34, s[0:1]
	v_mul_f32_e32 v31, 0x37800000, v23
	v_cndmask_b32_e32 v23, v23, v31, vcc
	v_cmp_class_f32_e32 vcc, v22, v1
	s_nop 1
	v_cndmask_b32_e32 v22, v23, v22, vcc
	v_div_scale_f32 v23, s[0:1], v22, v22, 1.0
	v_rcp_f32_e32 v31, v23
	s_nop 0
	v_fma_f32 v34, -v23, v31, 1.0
	v_fmac_f32_e32 v31, v34, v31
	v_div_scale_f32 v34, vcc, 1.0, v22, 1.0
	v_mul_f32_e32 v35, v34, v31
	v_fma_f32 v36, -v23, v35, v34
	v_fmac_f32_e32 v35, v36, v31
	v_fma_f32 v23, -v23, v35, v34
	v_div_fmas_f32 v23, v23, v31, v35
	v_div_fixup_f32 v23, v23, v22, 1.0
	v_mul_f32_e32 v22, v4, v23
                                        ; implicit-def: $vgpr31
.LBB6_158:                              ;   in Loop: Header=BB6_139 Depth=2
	s_andn2_saveexec_b64 s[82:83], s[82:83]
	s_cbranch_execz .LBB6_160
; %bb.159:                              ;   in Loop: Header=BB6_139 Depth=2
	v_div_scale_f32 v4, s[0:1], v30, v30, -v31
	v_rcp_f32_e32 v22, v4
	v_div_scale_f32 v23, vcc, -v31, v30, -v31
	v_fma_f32 v34, -v4, v22, 1.0
	v_fmac_f32_e32 v22, v34, v22
	v_mul_f32_e32 v34, v23, v22
	v_fma_f32 v35, -v4, v34, v23
	v_fmac_f32_e32 v34, v35, v22
	v_fma_f32 v4, -v4, v34, v23
	v_div_fmas_f32 v4, v4, v22, v34
	v_div_fixup_f32 v4, v4, v30, -v31
	v_fma_f32 v22, v4, v4, 1.0
	v_mul_f32_e32 v23, 0x4f800000, v22
	v_cmp_gt_f32_e32 vcc, s35, v22
	s_nop 1
	v_cndmask_b32_e32 v22, v22, v23, vcc
	v_sqrt_f32_e32 v23, v22
	s_nop 0
	v_add_u32_e32 v31, -1, v23
	v_fma_f32 v34, -v31, v23, v22
	v_cmp_ge_f32_e64 s[0:1], 0, v34
	v_add_u32_e32 v34, 1, v23
	s_nop 0
	v_cndmask_b32_e64 v31, v23, v31, s[0:1]
	v_fma_f32 v23, -v34, v23, v22
	v_cmp_lt_f32_e64 s[0:1], 0, v23
	s_nop 1
	v_cndmask_b32_e64 v23, v31, v34, s[0:1]
	v_mul_f32_e32 v31, 0x37800000, v23
	v_cndmask_b32_e32 v23, v23, v31, vcc
	v_cmp_class_f32_e32 vcc, v22, v1
	s_nop 1
	v_cndmask_b32_e32 v22, v23, v22, vcc
	v_div_scale_f32 v23, s[0:1], v22, v22, 1.0
	v_rcp_f32_e32 v31, v23
	s_nop 0
	v_fma_f32 v34, -v23, v31, 1.0
	v_fmac_f32_e32 v31, v34, v31
	v_div_scale_f32 v34, vcc, 1.0, v22, 1.0
	v_mul_f32_e32 v35, v34, v31
	v_fma_f32 v36, -v23, v35, v34
	v_fmac_f32_e32 v35, v36, v31
	v_fma_f32 v23, -v23, v35, v34
	v_div_fmas_f32 v23, v23, v31, v35
	v_div_fixup_f32 v22, v23, v22, 1.0
	v_mul_f32_e32 v23, v4, v22
.LBB6_160:                              ;   in Loop: Header=BB6_139 Depth=2
	s_or_b64 exec, exec, s[82:83]
.LBB6_161:                              ;   in Loop: Header=BB6_139 Depth=2
	s_or_b64 exec, exec, s[80:81]
.LBB6_162:                              ;   in Loop: Header=BB6_139 Depth=2
	s_or_b64 exec, exec, s[78:79]
	global_load_dword v4, v[32:33], off offset:4
	v_add_u32_e32 v34, 1, v24
	v_lshl_add_u64 v[36:37], v[24:25], 2, s[46:47]
	v_xor_b32_e32 v40, 0x80000000, v22
	v_cmp_lt_i32_e32 vcc, v34, v20
	v_lshl_add_u64 v[38:39], s[10:11], 2, v[36:37]
	s_waitcnt vmcnt(0)
	v_sub_f32_e32 v4, v4, v21
	v_pk_mul_f32 v[42:43], v[22:23], v[4:5]
	s_nop 0
	v_fma_f32 v25, v30, v43, -v42
	v_mul_f32_e64 v4, v25, -v22
	v_fma_f32 v21, v25, -v22, v21
	v_fma_f32 v31, v23, v25, -v30
	ds_write_b32 v46, v4 offset:8
	global_store_dword v[32:33], v21, off
	global_store_dword v[36:37], v23, off
	global_store_dword v[38:39], v40, off offset:-4
	s_and_saveexec_b64 s[78:79], vcc
	s_cbranch_execz .LBB6_179
; %bb.163:                              ;   in Loop: Header=BB6_139 Depth=2
	v_ashrrev_i32_e32 v35, 31, v34
	v_lshlrev_b64 v[36:37], 2, v[34:35]
	v_lshl_add_u64 v[32:33], s[46:47], 0, v[36:37]
	v_lshl_add_u64 v[34:35], s[58:59], 0, v[36:37]
	;; [unrolled: 1-line block ×3, first 2 shown]
	s_mov_b32 s41, 1
	s_mov_b64 s[80:81], 0
	s_branch .LBB6_165
.LBB6_164:                              ;   in Loop: Header=BB6_165 Depth=3
	global_load_dwordx2 v[30:31], v[36:37], off
	s_add_i32 s41, s41, 1
	v_add_u32_e32 v25, s41, v24
	v_cmp_ge_i32_e32 vcc, v25, v20
	v_mul_f32_e32 v21, v23, v21
	v_lshl_add_u64 v[22:23], v[36:37], 0, 4
	v_lshl_add_u64 v[34:35], v[34:35], 0, 4
	v_xor_b32_e32 v40, 0x80000000, v38
	v_lshl_add_u64 v[42:43], v[32:33], 0, s[60:61]
	s_or_b64 s[80:81], vcc, s[80:81]
	s_waitcnt vmcnt(0)
	v_sub_f32_e32 v25, v30, v4
	v_sub_f32_e32 v4, v31, v25
	v_pk_mul_f32 v[30:31], v[38:39], v[4:5]
	s_nop 0
	v_fma_f32 v30, v21, v31, -v30
	v_fma_f32 v25, v30, -v38, v25
	v_mul_f32_e64 v4, v30, -v38
	v_fma_f32 v31, v39, v30, -v21
	global_store_dword v[36:37], v25, off
	global_store_dword v[32:33], v39, off
	;; [unrolled: 1-line block ×3, first 2 shown]
	v_lshl_add_u64 v[32:33], v[32:33], 0, 4
	v_mov_b64_e32 v[36:37], v[22:23]
	v_mov_b32_e32 v23, v39
	s_andn2_b64 exec, exec, s[80:81]
	s_cbranch_execz .LBB6_178
.LBB6_165:                              ;   Parent Loop BB6_7 Depth=1
                                        ;     Parent Loop BB6_139 Depth=2
                                        ; =>    This Inner Loop Header: Depth=3
	global_load_dword v21, v[34:35], off offset:4
	v_mov_b32_e32 v38, 0
	v_mov_b32_e32 v39, 1.0
	s_waitcnt vmcnt(0)
	v_mul_f32_e32 v30, v40, v21
	v_cmp_neq_f32_e32 vcc, 0, v30
	s_and_saveexec_b64 s[82:83], vcc
	s_cbranch_execz .LBB6_175
; %bb.166:                              ;   in Loop: Header=BB6_165 Depth=3
	v_cmp_neq_f32_e32 vcc, 0, v31
	v_xor_b32_e32 v22, 0x80000000, v30
                                        ; implicit-def: $vgpr39
	s_and_saveexec_b64 s[0:1], vcc
	s_xor_b64 s[84:85], exec, s[0:1]
	s_cbranch_execz .LBB6_172
; %bb.167:                              ;   in Loop: Header=BB6_165 Depth=3
	v_cmp_ngt_f32_e64 s[0:1], |v30|, |v31|
                                        ; implicit-def: $vgpr39
	s_and_saveexec_b64 s[86:87], s[0:1]
	s_xor_b64 s[86:87], exec, s[86:87]
	s_cbranch_execz .LBB6_169
; %bb.168:                              ;   in Loop: Header=BB6_165 Depth=3
	v_div_scale_f32 v22, s[0:1], v31, v31, -v30
	v_rcp_f32_e32 v25, v22
	v_div_scale_f32 v38, vcc, -v30, v31, -v30
	v_fma_f32 v39, -v22, v25, 1.0
	v_fmac_f32_e32 v25, v39, v25
	v_mul_f32_e32 v39, v38, v25
	v_fma_f32 v40, -v22, v39, v38
	v_fmac_f32_e32 v39, v40, v25
	v_fma_f32 v22, -v22, v39, v38
	v_div_fmas_f32 v22, v22, v25, v39
	v_div_fixup_f32 v22, v22, v31, -v30
	v_fma_f32 v25, v22, v22, 1.0
	v_mul_f32_e32 v38, 0x4f800000, v25
	v_cmp_gt_f32_e32 vcc, s35, v25
	s_nop 1
	v_cndmask_b32_e32 v25, v25, v38, vcc
	v_sqrt_f32_e32 v38, v25
	s_nop 0
	v_add_u32_e32 v39, -1, v38
	v_fma_f32 v40, -v39, v38, v25
	v_cmp_ge_f32_e64 s[0:1], 0, v40
	v_add_u32_e32 v40, 1, v38
	s_nop 0
	v_cndmask_b32_e64 v39, v38, v39, s[0:1]
	v_fma_f32 v38, -v40, v38, v25
	v_cmp_lt_f32_e64 s[0:1], 0, v38
	s_nop 1
	v_cndmask_b32_e64 v38, v39, v40, s[0:1]
	v_mul_f32_e32 v39, 0x37800000, v38
	v_cndmask_b32_e32 v38, v38, v39, vcc
	v_cmp_class_f32_e32 vcc, v25, v1
	s_nop 1
	v_cndmask_b32_e32 v25, v38, v25, vcc
	v_div_scale_f32 v38, s[0:1], v25, v25, 1.0
	v_rcp_f32_e32 v39, v38
	s_nop 0
	v_fma_f32 v40, -v38, v39, 1.0
	v_fmac_f32_e32 v39, v40, v39
	v_div_scale_f32 v40, vcc, 1.0, v25, 1.0
	v_mul_f32_e32 v41, v40, v39
	v_fma_f32 v42, -v38, v41, v40
	v_fmac_f32_e32 v41, v42, v39
	v_fma_f32 v38, -v38, v41, v40
	v_div_fmas_f32 v38, v38, v39, v41
	v_div_fixup_f32 v39, v38, v25, 1.0
	v_mul_f32_e32 v38, v22, v39
.LBB6_169:                              ;   in Loop: Header=BB6_165 Depth=3
	s_andn2_saveexec_b64 s[86:87], s[86:87]
	s_cbranch_execz .LBB6_171
; %bb.170:                              ;   in Loop: Header=BB6_165 Depth=3
	v_div_scale_f32 v22, s[0:1], v30, v30, -v31
	v_rcp_f32_e32 v25, v22
	v_div_scale_f32 v38, vcc, -v31, v30, -v31
	v_fma_f32 v39, -v22, v25, 1.0
	v_fmac_f32_e32 v25, v39, v25
	v_mul_f32_e32 v39, v38, v25
	v_fma_f32 v40, -v22, v39, v38
	v_fmac_f32_e32 v39, v40, v25
	v_fma_f32 v22, -v22, v39, v38
	v_div_fmas_f32 v22, v22, v25, v39
	v_div_fixup_f32 v22, v22, v30, -v31
	v_fma_f32 v25, v22, v22, 1.0
	v_mul_f32_e32 v38, 0x4f800000, v25
	v_cmp_gt_f32_e32 vcc, s35, v25
	s_nop 1
	v_cndmask_b32_e32 v25, v25, v38, vcc
	v_sqrt_f32_e32 v38, v25
	s_nop 0
	v_add_u32_e32 v39, -1, v38
	v_fma_f32 v40, -v39, v38, v25
	v_cmp_ge_f32_e64 s[0:1], 0, v40
	v_add_u32_e32 v40, 1, v38
	s_nop 0
	v_cndmask_b32_e64 v39, v38, v39, s[0:1]
	v_fma_f32 v38, -v40, v38, v25
	v_cmp_lt_f32_e64 s[0:1], 0, v38
	s_nop 1
	v_cndmask_b32_e64 v38, v39, v40, s[0:1]
	v_mul_f32_e32 v39, 0x37800000, v38
	v_cndmask_b32_e32 v38, v38, v39, vcc
	v_cmp_class_f32_e32 vcc, v25, v1
	s_nop 1
	v_cndmask_b32_e32 v25, v38, v25, vcc
	v_div_scale_f32 v38, s[0:1], v25, v25, 1.0
	v_rcp_f32_e32 v39, v38
	s_nop 0
	v_fma_f32 v40, -v38, v39, 1.0
	v_fmac_f32_e32 v39, v40, v39
	v_div_scale_f32 v40, vcc, 1.0, v25, 1.0
	v_mul_f32_e32 v41, v40, v39
	v_fma_f32 v42, -v38, v41, v40
	v_fmac_f32_e32 v41, v42, v39
	v_fma_f32 v38, -v38, v41, v40
	v_div_fmas_f32 v38, v38, v39, v41
	v_div_fixup_f32 v38, v38, v25, 1.0
	v_mul_f32_e32 v39, v22, v38
.LBB6_171:                              ;   in Loop: Header=BB6_165 Depth=3
	s_or_b64 exec, exec, s[86:87]
	v_pk_mul_f32 v[30:31], v[30:31], v[38:39]
	s_nop 0
	v_sub_f32_e32 v22, v31, v30
.LBB6_172:                              ;   in Loop: Header=BB6_165 Depth=3
	s_andn2_saveexec_b64 s[0:1], s[84:85]
; %bb.173:                              ;   in Loop: Header=BB6_165 Depth=3
	v_mov_b32_e32 v38, 1.0
	v_mov_b32_e32 v39, 0
; %bb.174:                              ;   in Loop: Header=BB6_165 Depth=3
	s_or_b64 exec, exec, s[0:1]
	v_mov_b32_e32 v31, v22
.LBB6_175:                              ;   in Loop: Header=BB6_165 Depth=3
	s_or_b64 exec, exec, s[82:83]
	s_cmp_eq_u32 s41, 0
	s_cbranch_scc1 .LBB6_164
; %bb.176:                              ;   in Loop: Header=BB6_165 Depth=3
	global_store_dword v[34:35], v31, off
	s_branch .LBB6_164
.LBB6_177:                              ;   in Loop: Header=BB6_139 Depth=2
	ds_write2_b32 v46, v24, v20 offset0:1 offset1:4
	s_cbranch_execz .LBB6_150
	s_branch .LBB6_151
.LBB6_178:                              ;   in Loop: Header=BB6_139 Depth=2
	s_or_b64 exec, exec, s[80:81]
	ds_write_b32 v46, v4 offset:8
.LBB6_179:                              ;   in Loop: Header=BB6_139 Depth=2
	s_or_b64 exec, exec, s[78:79]
	global_load_dword v22, v[26:27], off
.LBB6_180:                              ;   in Loop: Header=BB6_139 Depth=2
	s_or_b64 exec, exec, s[76:77]
	s_waitcnt vmcnt(0)
	v_sub_f32_e32 v4, v22, v4
	global_store_dword v[26:27], v4, off
	global_store_dword v[28:29], v31, off offset:-4
                                        ; implicit-def: $vgpr26_vgpr27
                                        ; implicit-def: $vgpr28_vgpr29
                                        ; implicit-def: $vgpr20
                                        ; implicit-def: $vgpr22
                                        ; implicit-def: $vgpr24
.LBB6_181:                              ;   in Loop: Header=BB6_139 Depth=2
	s_andn2_saveexec_b64 s[76:77], s[4:5]
	s_cbranch_execz .LBB6_214
; %bb.182:                              ;   in Loop: Header=BB6_139 Depth=2
	v_ashrrev_i32_e32 v25, 31, v24
	v_lshlrev_b64 v[30:31], 2, v[24:25]
	v_lshl_add_u64 v[32:33], s[22:23], 0, v[30:31]
	v_lshl_add_u64 v[30:31], s[44:45], 0, v[30:31]
	global_load_dword v23, v[32:33], off
	s_nop 0
	global_load_dword v31, v[30:31], off
                                        ; implicit-def: $vgpr4
	s_waitcnt vmcnt(1)
	v_sub_f32_e32 v30, v23, v22
	s_waitcnt vmcnt(0)
	v_add_f32_e32 v21, v31, v31
	v_and_b32_e32 v32, 0x7fffffff, v21
	v_cmp_ngt_f32_e64 s[0:1], |v30|, |v21|
	s_and_saveexec_b64 s[4:5], s[0:1]
	s_xor_b64 s[4:5], exec, s[4:5]
	s_cbranch_execz .LBB6_188
; %bb.183:                              ;   in Loop: Header=BB6_139 Depth=2
	v_cmp_nlt_f32_e64 s[0:1], |v30|, |v21|
                                        ; implicit-def: $vgpr4
	s_and_saveexec_b64 s[78:79], s[0:1]
	s_xor_b64 s[0:1], exec, s[78:79]
; %bb.184:                              ;   in Loop: Header=BB6_139 Depth=2
	v_cvt_f64_f32_e32 v[32:33], v32
	v_mul_f64 v[32:33], v[32:33], s[90:91]
	v_cvt_f32_f64_e32 v4, v[32:33]
                                        ; implicit-def: $vgpr32
; %bb.185:                              ;   in Loop: Header=BB6_139 Depth=2
	s_andn2_saveexec_b64 s[78:79], s[0:1]
	s_cbranch_execz .LBB6_187
; %bb.186:                              ;   in Loop: Header=BB6_139 Depth=2
	v_and_b32_e32 v4, 0x7fffffff, v30
	v_div_scale_f32 v33, s[0:1], v32, v32, v4
	v_rcp_f32_e32 v34, v33
	v_div_scale_f32 v4, vcc, v4, v32, v4
	v_fma_f32 v32, -v33, v34, 1.0
	v_fmac_f32_e32 v34, v32, v34
	v_mul_f32_e32 v32, v4, v34
	v_fma_f32 v35, -v33, v32, v4
	v_fmac_f32_e32 v32, v35, v34
	v_fma_f32 v4, -v33, v32, v4
	v_div_fmas_f32 v4, v4, v34, v32
	v_div_fixup_f32 v4, v4, |v21|, |v30|
	v_fma_f32 v4, v4, v4, 1.0
	v_mul_f32_e32 v32, 0x4f800000, v4
	v_cmp_gt_f32_e32 vcc, s35, v4
	s_nop 1
	v_cndmask_b32_e32 v4, v4, v32, vcc
	v_sqrt_f32_e32 v32, v4
	s_nop 0
	v_add_u32_e32 v33, -1, v32
	v_fma_f32 v34, -v33, v32, v4
	v_cmp_ge_f32_e64 s[0:1], 0, v34
	v_add_u32_e32 v34, 1, v32
	s_nop 0
	v_cndmask_b32_e64 v33, v32, v33, s[0:1]
	v_fma_f32 v32, -v34, v32, v4
	v_cmp_lt_f32_e64 s[0:1], 0, v32
	s_nop 1
	v_cndmask_b32_e64 v32, v33, v34, s[0:1]
	v_mul_f32_e32 v33, 0x37800000, v32
	v_cndmask_b32_e32 v32, v32, v33, vcc
	v_cmp_class_f32_e32 vcc, v4, v1
	s_nop 1
	v_cndmask_b32_e32 v4, v32, v4, vcc
	v_mul_f32_e64 v4, |v21|, v4
.LBB6_187:                              ;   in Loop: Header=BB6_139 Depth=2
	s_or_b64 exec, exec, s[78:79]
                                        ; implicit-def: $vgpr32
.LBB6_188:                              ;   in Loop: Header=BB6_139 Depth=2
	s_andn2_saveexec_b64 s[4:5], s[4:5]
	s_cbranch_execz .LBB6_190
; %bb.189:                              ;   in Loop: Header=BB6_139 Depth=2
	v_and_b32_e32 v4, 0x7fffffff, v30
	v_div_scale_f32 v33, s[0:1], v4, v4, v32
	v_rcp_f32_e32 v34, v33
	v_div_scale_f32 v4, vcc, v32, v4, v32
	v_fma_f32 v32, -v33, v34, 1.0
	v_fmac_f32_e32 v34, v32, v34
	v_mul_f32_e32 v32, v4, v34
	v_fma_f32 v35, -v33, v32, v4
	v_fmac_f32_e32 v32, v35, v34
	v_fma_f32 v4, -v33, v32, v4
	v_div_fmas_f32 v4, v4, v34, v32
	v_div_fixup_f32 v4, v4, |v30|, |v21|
	v_fma_f32 v4, v4, v4, 1.0
	v_mul_f32_e32 v32, 0x4f800000, v4
	v_cmp_gt_f32_e32 vcc, s35, v4
	s_nop 1
	v_cndmask_b32_e32 v4, v4, v32, vcc
	v_sqrt_f32_e32 v32, v4
	s_nop 0
	v_add_u32_e32 v33, -1, v32
	v_fma_f32 v34, -v33, v32, v4
	v_cmp_ge_f32_e64 s[0:1], 0, v34
	v_add_u32_e32 v34, 1, v32
	s_nop 0
	v_cndmask_b32_e64 v33, v32, v33, s[0:1]
	v_fma_f32 v32, -v34, v32, v4
	v_cmp_lt_f32_e64 s[0:1], 0, v32
	s_nop 1
	v_cndmask_b32_e64 v32, v33, v34, s[0:1]
	v_mul_f32_e32 v33, 0x37800000, v32
	v_cndmask_b32_e32 v32, v32, v33, vcc
	v_cmp_class_f32_e32 vcc, v4, v1
	s_nop 1
	v_cndmask_b32_e32 v4, v32, v4, vcc
	v_mul_f32_e64 v4, |v30|, v4
.LBB6_190:                              ;   in Loop: Header=BB6_139 Depth=2
	s_or_b64 exec, exec, s[4:5]
	v_add_f32_e32 v34, v22, v23
	v_cmp_gt_f32_e64 vcc, |v23|, |v22|
	s_nop 1
	v_cndmask_b32_e32 v33, v23, v22, vcc
	v_cndmask_b32_e32 v35, v22, v23, vcc
	v_cmp_ngt_f32_e32 vcc, 0, v34
                                        ; implicit-def: $vgpr22_vgpr23
	s_and_saveexec_b64 s[0:1], vcc
	s_xor_b64 s[0:1], exec, s[0:1]
	s_cbranch_execz .LBB6_196
; %bb.191:                              ;   in Loop: Header=BB6_139 Depth=2
	v_cmp_nlt_f32_e32 vcc, 0, v34
                                        ; implicit-def: $vgpr22_vgpr23
	s_and_saveexec_b64 s[4:5], vcc
	s_xor_b64 s[4:5], exec, s[4:5]
; %bb.192:                              ;   in Loop: Header=BB6_139 Depth=2
	v_pk_mul_f32 v[22:23], v[4:5], s[72:73] op_sel_hi:[0,1]
                                        ; implicit-def: $vgpr34
                                        ; implicit-def: $vgpr35
                                        ; implicit-def: $vgpr33
                                        ; implicit-def: $vgpr31
; %bb.193:                              ;   in Loop: Header=BB6_139 Depth=2
	s_andn2_saveexec_b64 s[4:5], s[4:5]
	s_cbranch_execz .LBB6_195
; %bb.194:                              ;   in Loop: Header=BB6_139 Depth=2
	v_add_f32_e32 v22, v34, v4
	v_mul_f32_e32 v22, 0.5, v22
	v_cvt_f64_f32_e32 v[34:35], v35
	v_cvt_f64_f32_e32 v[36:37], v22
	v_div_scale_f64 v[38:39], s[78:79], v[36:37], v[36:37], v[34:35]
	v_rcp_f64_e32 v[40:41], v[38:39]
	v_cvt_f64_f32_e32 v[32:33], v33
	v_fma_f64 v[42:43], -v[38:39], v[40:41], 1.0
	v_fmac_f64_e32 v[40:41], v[40:41], v[42:43]
	v_fma_f64 v[42:43], -v[38:39], v[40:41], 1.0
	v_fmac_f64_e32 v[40:41], v[40:41], v[42:43]
	v_div_scale_f64 v[42:43], vcc, v[34:35], v[36:37], v[34:35]
	v_mul_f64 v[44:45], v[42:43], v[40:41]
	v_fma_f64 v[38:39], -v[38:39], v[44:45], v[42:43]
	v_cvt_f64_f32_e32 v[42:43], v31
	v_div_scale_f64 v[52:53], s[78:79], v[36:37], v[36:37], v[42:43]
	v_rcp_f64_e32 v[54:55], v[52:53]
	v_div_fmas_f64 v[38:39], v[38:39], v[40:41], v[44:45]
	v_div_fixup_f64 v[34:35], v[38:39], v[36:37], v[34:35]
	v_fma_f64 v[38:39], -v[52:53], v[54:55], 1.0
	v_fmac_f64_e32 v[54:55], v[54:55], v[38:39]
	v_fma_f64 v[38:39], -v[52:53], v[54:55], 1.0
	v_fmac_f64_e32 v[54:55], v[54:55], v[38:39]
	v_div_scale_f64 v[38:39], vcc, v[42:43], v[36:37], v[42:43]
	v_mul_f64 v[40:41], v[38:39], v[54:55]
	v_fma_f64 v[38:39], -v[52:53], v[40:41], v[38:39]
	s_nop 1
	v_div_fmas_f64 v[38:39], v[38:39], v[54:55], v[40:41]
	v_div_fixup_f64 v[36:37], v[38:39], v[36:37], v[42:43]
	v_mul_f64 v[36:37], v[36:37], v[42:43]
	v_fma_f64 v[32:33], v[34:35], v[32:33], -v[36:37]
	v_cvt_f32_f64_e32 v23, v[32:33]
.LBB6_195:                              ;   in Loop: Header=BB6_139 Depth=2
	s_or_b64 exec, exec, s[4:5]
                                        ; implicit-def: $vgpr34
                                        ; implicit-def: $vgpr35
                                        ; implicit-def: $vgpr33
                                        ; implicit-def: $vgpr31
.LBB6_196:                              ;   in Loop: Header=BB6_139 Depth=2
	s_or_saveexec_b64 s[0:1], s[0:1]
	v_mov_b32_e32 v32, 1
	s_xor_b64 exec, exec, s[0:1]
	s_cbranch_execz .LBB6_198
; %bb.197:                              ;   in Loop: Header=BB6_139 Depth=2
	v_sub_f32_e32 v22, v34, v4
	v_mul_f32_e32 v22, 0.5, v22
	v_cvt_f64_f32_e32 v[34:35], v35
	v_cvt_f64_f32_e32 v[36:37], v22
	v_div_scale_f64 v[38:39], s[4:5], v[36:37], v[36:37], v[34:35]
	v_rcp_f64_e32 v[40:41], v[38:39]
	v_cvt_f64_f32_e32 v[32:33], v33
	v_fma_f64 v[42:43], -v[38:39], v[40:41], 1.0
	v_fmac_f64_e32 v[40:41], v[40:41], v[42:43]
	v_fma_f64 v[42:43], -v[38:39], v[40:41], 1.0
	v_fmac_f64_e32 v[40:41], v[40:41], v[42:43]
	v_div_scale_f64 v[42:43], vcc, v[34:35], v[36:37], v[34:35]
	v_mul_f64 v[44:45], v[42:43], v[40:41]
	v_fma_f64 v[38:39], -v[38:39], v[44:45], v[42:43]
	v_cvt_f64_f32_e32 v[42:43], v31
	v_div_scale_f64 v[52:53], s[4:5], v[36:37], v[36:37], v[42:43]
	v_rcp_f64_e32 v[54:55], v[52:53]
	v_div_fmas_f64 v[38:39], v[38:39], v[40:41], v[44:45]
	v_div_fixup_f64 v[34:35], v[38:39], v[36:37], v[34:35]
	v_fma_f64 v[38:39], -v[52:53], v[54:55], 1.0
	v_fmac_f64_e32 v[54:55], v[54:55], v[38:39]
	v_fma_f64 v[38:39], -v[52:53], v[54:55], 1.0
	v_fmac_f64_e32 v[54:55], v[54:55], v[38:39]
	v_div_scale_f64 v[38:39], vcc, v[42:43], v[36:37], v[42:43]
	v_mul_f64 v[40:41], v[38:39], v[54:55]
	v_fma_f64 v[38:39], -v[52:53], v[40:41], v[38:39]
	s_nop 1
	v_div_fmas_f64 v[38:39], v[38:39], v[54:55], v[40:41]
	v_div_fixup_f64 v[36:37], v[38:39], v[36:37], v[42:43]
	v_mul_f64 v[36:37], v[36:37], v[42:43]
	v_fma_f64 v[32:33], v[34:35], v[32:33], -v[36:37]
	v_cvt_f32_f64_e32 v23, v[32:33]
	v_mov_b32_e32 v32, -1
.LBB6_198:                              ;   in Loop: Header=BB6_139 Depth=2
	s_or_b64 exec, exec, s[0:1]
	v_cmp_nle_f32_e64 s[4:5], 0, v30
                                        ; implicit-def: $vgpr31
	s_nop 1
	v_cndmask_b32_e64 v4, v4, -v4, s[4:5]
	v_add_f32_e32 v4, v30, v4
	v_cmp_ngt_f32_e64 s[0:1], |v4|, |v21|
                                        ; implicit-def: $vgpr30
	s_and_saveexec_b64 s[78:79], s[0:1]
	s_xor_b64 s[78:79], exec, s[78:79]
	s_cbranch_execz .LBB6_202
; %bb.199:                              ;   in Loop: Header=BB6_139 Depth=2
	v_mov_b32_e32 v30, 0
	v_cmp_neq_f32_e32 vcc, 0, v21
	v_mov_b32_e32 v31, 1.0
	s_and_saveexec_b64 s[80:81], vcc
	s_cbranch_execz .LBB6_201
; %bb.200:                              ;   in Loop: Header=BB6_139 Depth=2
	v_div_scale_f32 v30, s[0:1], v21, v21, -v4
	v_rcp_f32_e32 v31, v30
	v_div_scale_f32 v33, vcc, -v4, v21, -v4
	v_fma_f32 v34, -v30, v31, 1.0
	v_fmac_f32_e32 v31, v34, v31
	v_mul_f32_e32 v34, v33, v31
	v_fma_f32 v35, -v30, v34, v33
	v_fmac_f32_e32 v34, v35, v31
	v_fma_f32 v30, -v30, v34, v33
	v_div_fmas_f32 v30, v30, v31, v34
	v_div_fixup_f32 v4, v30, v21, -v4
	v_fma_f32 v21, v4, v4, 1.0
	v_mul_f32_e32 v30, 0x4f800000, v21
	v_cmp_gt_f32_e32 vcc, s35, v21
	s_nop 1
	v_cndmask_b32_e32 v21, v21, v30, vcc
	v_sqrt_f32_e32 v30, v21
	s_nop 0
	v_add_u32_e32 v31, -1, v30
	v_fma_f32 v33, -v31, v30, v21
	v_cmp_ge_f32_e64 s[0:1], 0, v33
	v_add_u32_e32 v33, 1, v30
	s_nop 0
	v_cndmask_b32_e64 v31, v30, v31, s[0:1]
	v_fma_f32 v30, -v33, v30, v21
	v_cmp_lt_f32_e64 s[0:1], 0, v30
	s_nop 1
	v_cndmask_b32_e64 v30, v31, v33, s[0:1]
	v_mul_f32_e32 v31, 0x37800000, v30
	v_cndmask_b32_e32 v30, v30, v31, vcc
	v_cmp_class_f32_e32 vcc, v21, v1
	s_nop 1
	v_cndmask_b32_e32 v21, v30, v21, vcc
	v_div_scale_f32 v30, s[0:1], v21, v21, 1.0
	v_rcp_f32_e32 v31, v30
	s_nop 0
	v_fma_f32 v33, -v30, v31, 1.0
	v_fmac_f32_e32 v31, v33, v31
	v_div_scale_f32 v33, vcc, 1.0, v21, 1.0
	v_mul_f32_e32 v34, v33, v31
	v_fma_f32 v35, -v30, v34, v33
	v_fmac_f32_e32 v34, v35, v31
	v_fma_f32 v30, -v30, v34, v33
	v_div_fmas_f32 v30, v30, v31, v34
	v_div_fixup_f32 v31, v30, v21, 1.0
	v_mul_f32_e32 v30, v4, v31
.LBB6_201:                              ;   in Loop: Header=BB6_139 Depth=2
	s_or_b64 exec, exec, s[80:81]
                                        ; implicit-def: $vgpr4
                                        ; implicit-def: $vgpr21
.LBB6_202:                              ;   in Loop: Header=BB6_139 Depth=2
	s_andn2_saveexec_b64 s[78:79], s[78:79]
	s_cbranch_execz .LBB6_204
; %bb.203:                              ;   in Loop: Header=BB6_139 Depth=2
	v_div_scale_f32 v30, s[0:1], v4, v4, -v21
	v_rcp_f32_e32 v31, v30
	v_div_scale_f32 v33, vcc, -v21, v4, -v21
	v_fma_f32 v34, -v30, v31, 1.0
	v_fmac_f32_e32 v31, v34, v31
	v_mul_f32_e32 v34, v33, v31
	v_fma_f32 v35, -v30, v34, v33
	v_fmac_f32_e32 v34, v35, v31
	v_fma_f32 v30, -v30, v34, v33
	v_div_fmas_f32 v30, v30, v31, v34
	v_div_fixup_f32 v4, v30, v4, -v21
	v_fma_f32 v21, v4, v4, 1.0
	v_mul_f32_e32 v30, 0x4f800000, v21
	v_cmp_gt_f32_e32 vcc, s35, v21
	s_nop 1
	v_cndmask_b32_e32 v21, v21, v30, vcc
	v_sqrt_f32_e32 v30, v21
	s_nop 0
	v_add_u32_e32 v31, -1, v30
	v_fma_f32 v33, -v31, v30, v21
	v_cmp_ge_f32_e64 s[0:1], 0, v33
	v_add_u32_e32 v33, 1, v30
	s_nop 0
	v_cndmask_b32_e64 v31, v30, v31, s[0:1]
	v_fma_f32 v30, -v33, v30, v21
	v_cmp_lt_f32_e64 s[0:1], 0, v30
	s_nop 1
	v_cndmask_b32_e64 v30, v31, v33, s[0:1]
	v_mul_f32_e32 v31, 0x37800000, v30
	v_cndmask_b32_e32 v30, v30, v31, vcc
	v_cmp_class_f32_e32 vcc, v21, v1
	s_nop 1
	v_cndmask_b32_e32 v21, v30, v21, vcc
	v_div_scale_f32 v30, s[0:1], v21, v21, 1.0
	v_rcp_f32_e32 v31, v30
	s_nop 0
	v_fma_f32 v33, -v30, v31, 1.0
	v_fmac_f32_e32 v31, v33, v31
	v_div_scale_f32 v33, vcc, 1.0, v21, 1.0
	v_mul_f32_e32 v34, v33, v31
	v_fma_f32 v35, -v30, v34, v33
	v_fmac_f32_e32 v34, v35, v31
	v_fma_f32 v30, -v30, v34, v33
	v_div_fmas_f32 v30, v30, v31, v34
	v_div_fixup_f32 v30, v30, v21, 1.0
	v_mul_f32_e32 v31, v4, v30
.LBB6_204:                              ;   in Loop: Header=BB6_139 Depth=2
	s_or_b64 exec, exec, s[78:79]
	v_cndmask_b32_e64 v4, 1, -1, s[4:5]
	v_cmp_eq_u32_e32 vcc, v32, v4
	v_lshl_add_u64 v[24:25], v[24:25], 2, s[46:47]
	s_nop 0
	v_cndmask_b32_e64 v4, v31, -v30, vcc
	v_cndmask_b32_e32 v21, v30, v31, vcc
	global_store_dword v[24:25], v4, off
	v_lshl_add_u64 v[24:25], s[10:11], 2, v[24:25]
	global_store_dword v[24:25], v21, off offset:-4
	global_store_dwordx2 v[26:27], v[22:23], off offset:-4
	v_lshl_add_u64 v[22:23], v[28:29], 2, s[44:45]
	v_add_u32_e32 v4, -2, v20
	global_store_dword v[22:23], v46, off offset:-4
	ds_write_b32 v46, v4
	s_or_b64 exec, exec, s[76:77]
                                        ; implicit-def: $vgpr4
.LBB6_205:                              ;   in Loop: Header=BB6_139 Depth=2
	s_andn2_saveexec_b64 s[0:1], s[74:75]
.LBB6_206:                              ;   in Loop: Header=BB6_139 Depth=2
	ds_write_b32 v46, v4
.LBB6_207:                              ;   in Loop: Header=BB6_139 Depth=2
	s_or_b64 exec, exec, s[0:1]
.LBB6_208:                              ;   in Loop: Header=BB6_139 Depth=2
	s_or_b64 exec, exec, s[6:7]
	s_waitcnt lgkmcnt(0)
	s_barrier
	ds_read_b64 v[20:21], v46
	s_waitcnt lgkmcnt(0)
	v_readfirstlane_b32 s4, v21
	s_nop 1
	v_cmp_eq_u32_e32 vcc, s4, v20
	v_mov_b32_e32 v20, s4
	s_cbranch_vccnz .LBB6_138
; %bb.209:                              ;   in Loop: Header=BB6_139 Depth=2
	s_and_saveexec_b64 s[0:1], s[2:3]
	s_cbranch_execz .LBB6_137
; %bb.210:                              ;   in Loop: Header=BB6_139 Depth=2
	ds_read_b32 v4, v46 offset:16
	s_ashr_i32 s5, s4, 31
	s_lshl_b64 s[74:75], s[4:5], 2
	s_mul_i32 s6, s4, s15
	v_mov_b32_e32 v22, v0
	s_waitcnt lgkmcnt(0)
	v_readfirstlane_b32 s5, v4
	s_sub_i32 s41, s5, s4
	s_add_u32 s4, s46, s74
	s_addc_u32 s5, s47, s75
	s_ashr_i32 s7, s6, 31
	s_lshl_b64 s[78:79], s[6:7], 2
	s_add_u32 s6, s14, s78
	s_addc_u32 s7, s33, s79
	s_cmp_gt_i32 s41, 0
	s_mul_hi_i32 s77, s41, s48
	s_mul_i32 s76, s41, s48
	s_cselect_b64 s[74:75], -1, 0
	s_lshl_b64 s[76:77], s[76:77], 2
	s_add_u32 s76, s6, s76
	s_addc_u32 s77, s7, s77
	v_lshl_add_u64 v[20:21], v[2:3], 0, s[78:79]
	s_mov_b64 s[78:79], 0
	s_branch .LBB6_212
.LBB6_211:                              ;   in Loop: Header=BB6_212 Depth=3
	v_lshl_add_u64 v[26:27], v[22:23], 2, s[76:77]
	v_add_u32_e32 v22, s34, v22
	v_cmp_le_i32_e32 vcc, s10, v22
	s_or_b64 s[78:79], vcc, s[78:79]
	v_lshl_add_u64 v[20:21], v[20:21], 0, s[52:53]
	s_waitcnt vmcnt(0)
	global_store_dword v[26:27], v24, off
	s_andn2_b64 exec, exec, s[78:79]
	s_cbranch_execz .LBB6_137
.LBB6_212:                              ;   Parent Loop BB6_7 Depth=1
                                        ;     Parent Loop BB6_139 Depth=2
                                        ; =>    This Loop Header: Depth=3
                                        ;         Child Loop BB6_213 Depth 4
	v_ashrrev_i32_e32 v23, 31, v22
	v_lshl_add_u64 v[24:25], v[22:23], 2, s[6:7]
	global_load_dword v24, v[24:25], off
	s_andn2_b64 vcc, exec, s[74:75]
	s_mov_b64 s[80:81], s[4:5]
	v_mov_b64_e32 v[26:27], v[20:21]
	s_mov_b32 s68, s41
	s_cbranch_vccnz .LBB6_211
.LBB6_213:                              ;   Parent Loop BB6_7 Depth=1
                                        ;     Parent Loop BB6_139 Depth=2
                                        ;       Parent Loop BB6_212 Depth=3
                                        ; =>      This Inner Loop Header: Depth=4
	s_add_u32 s82, s80, s60
	v_lshl_add_u64 v[28:29], v[26:27], 0, s[62:63]
	s_addc_u32 s83, s81, s61
	global_load_dword v31, v[28:29], off
	global_load_dword v30, v46, s[80:81]
	global_load_dword v25, v46, s[82:83]
	s_add_i32 s68, s68, -1
	s_waitcnt vmcnt(3)
	v_mov_b32_e32 v33, v24
	s_add_u32 s80, s80, 4
	s_addc_u32 s81, s81, 0
	s_cmp_eq_u32 s68, 0
	s_waitcnt vmcnt(1)
	v_mov_b32_e32 v32, v30
	s_waitcnt vmcnt(0)
	v_pk_mul_f32 v[34:35], v[24:25], v[30:31]
	v_mov_b32_e32 v24, v31
	v_add_f32_e32 v4, v34, v35
	v_pk_mul_f32 v[24:25], v[32:33], v[24:25]
	global_store_dword v[26:27], v4, off
	v_sub_f32_e32 v24, v24, v25
	v_mov_b64_e32 v[26:27], v[28:29]
	s_cbranch_scc0 .LBB6_213
	s_branch .LBB6_211
.LBB6_214:                              ;   in Loop: Header=BB6_139 Depth=2
	s_or_b64 exec, exec, s[76:77]
                                        ; implicit-def: $vgpr4
	s_andn2_saveexec_b64 s[0:1], s[74:75]
	s_cbranch_execnz .LBB6_206
	s_branch .LBB6_207
.LBB6_215:                              ;   in Loop: Header=BB6_7 Depth=1
	v_mov_b32_e32 v48, v21
	v_mov_b64_e32 v[8:9], v[24:25]
	v_mov_b64_e32 v[10:11], v[26:27]
.LBB6_216:                              ;   in Loop: Header=BB6_7 Depth=1
	s_barrier
	ds_read_b32 v4, v46 offset:24
	s_waitcnt lgkmcnt(0)
	v_cmp_nlt_f32_e32 vcc, s31, v4
	s_cbranch_vccnz .LBB6_223
; %bb.217:                              ;   in Loop: Header=BB6_7 Depth=1
	v_div_scale_f32 v22, s[0:1], v4, v4, s31
	v_rcp_f32_e32 v23, v22
	ds_read2_b32 v[20:21], v46 offset0:4 offset1:8
	v_fma_f32 v24, -v22, v23, 1.0
	v_fmac_f32_e32 v23, v24, v23
	v_div_scale_f32 v24, vcc, s31, v4, s31
	v_mul_f32_e32 v25, v24, v23
	v_fma_f32 v26, -v22, v25, v24
	v_fmac_f32_e32 v25, v26, v23
	v_fma_f32 v22, -v22, v25, v24
	v_div_fmas_f32 v22, v22, v23, v25
	v_div_fixup_f32 v26, v22, v4, s31
	s_and_saveexec_b64 s[0:1], s[8:9]
	s_cbranch_execz .LBB6_219
; %bb.218:                              ;   in Loop: Header=BB6_7 Depth=1
	s_waitcnt lgkmcnt(0)
	v_ashrrev_i32_e32 v23, 31, v21
	v_mov_b32_e32 v22, v21
	v_lshlrev_b64 v[22:23], 2, v[22:23]
	v_lshl_add_u64 v[22:23], s[22:23], 0, v[22:23]
	global_load_dword v24, v[22:23], off
	s_waitcnt vmcnt(0)
	v_mul_f32_e32 v24, v26, v24
	global_store_dword v[22:23], v24, off
.LBB6_219:                              ;   in Loop: Header=BB6_7 Depth=1
	s_or_b64 exec, exec, s[0:1]
	s_waitcnt lgkmcnt(0)
	v_add_u32_e32 v22, v20, v0
	v_cmp_lt_i32_e32 vcc, v22, v21
	s_and_saveexec_b64 s[0:1], vcc
	s_cbranch_execz .LBB6_222
; %bb.220:                              ;   in Loop: Header=BB6_7 Depth=1
	v_ashrrev_i32_e32 v23, 31, v22
	v_lshlrev_b64 v[24:25], 2, v[22:23]
	s_mov_b64 s[4:5], 0
.LBB6_221:                              ;   Parent Loop BB6_7 Depth=1
                                        ; =>  This Inner Loop Header: Depth=2
	v_lshl_add_u64 v[28:29], s[22:23], 0, v[24:25]
	global_load_dword v20, v[28:29], off
	v_lshl_add_u64 v[30:31], s[44:45], 0, v[24:25]
	v_add_u32_e32 v22, s34, v22
	v_cmp_ge_i32_e32 vcc, v22, v21
	v_lshl_add_u64 v[24:25], v[24:25], 0, s[52:53]
	s_or_b64 s[4:5], vcc, s[4:5]
	s_waitcnt vmcnt(0)
	v_mul_f32_e32 v20, v26, v20
	global_store_dword v[28:29], v20, off
	global_load_dword v20, v[30:31], off
	s_waitcnt vmcnt(0)
	v_mul_f32_e32 v20, v26, v20
	global_store_dword v[30:31], v20, off
	s_andn2_b64 exec, exec, s[4:5]
	s_cbranch_execnz .LBB6_221
.LBB6_222:                              ;   in Loop: Header=BB6_7 Depth=1
	s_or_b64 exec, exec, s[0:1]
.LBB6_223:                              ;   in Loop: Header=BB6_7 Depth=1
	v_cmp_ngt_f32_e32 vcc, s30, v4
	s_cbranch_vccnz .LBB6_5
; %bb.224:                              ;   in Loop: Header=BB6_7 Depth=1
	v_div_scale_f32 v22, s[0:1], v4, v4, s30
	v_rcp_f32_e32 v23, v22
	ds_read2_b32 v[20:21], v46 offset0:4 offset1:8
	v_fma_f32 v24, -v22, v23, 1.0
	v_fmac_f32_e32 v23, v24, v23
	v_div_scale_f32 v24, vcc, s30, v4, s30
	v_mul_f32_e32 v25, v24, v23
	v_fma_f32 v26, -v22, v25, v24
	v_fmac_f32_e32 v25, v26, v23
	v_fma_f32 v22, -v22, v25, v24
	v_div_fmas_f32 v22, v22, v23, v25
	v_div_fixup_f32 v4, v22, v4, s30
	s_and_saveexec_b64 s[0:1], s[8:9]
	s_cbranch_execz .LBB6_226
; %bb.225:                              ;   in Loop: Header=BB6_7 Depth=1
	s_waitcnt lgkmcnt(0)
	v_ashrrev_i32_e32 v23, 31, v21
	v_mov_b32_e32 v22, v21
	v_lshlrev_b64 v[22:23], 2, v[22:23]
	v_lshl_add_u64 v[22:23], s[22:23], 0, v[22:23]
	global_load_dword v24, v[22:23], off
	s_waitcnt vmcnt(0)
	v_mul_f32_e32 v24, v4, v24
	global_store_dword v[22:23], v24, off
.LBB6_226:                              ;   in Loop: Header=BB6_7 Depth=1
	s_or_b64 exec, exec, s[0:1]
	s_waitcnt lgkmcnt(0)
	v_add_u32_e32 v22, v20, v0
	v_cmp_lt_i32_e32 vcc, v22, v21
	s_and_saveexec_b64 s[0:1], vcc
	s_cbranch_execz .LBB6_4
; %bb.227:                              ;   in Loop: Header=BB6_7 Depth=1
	v_ashrrev_i32_e32 v23, 31, v22
	v_lshlrev_b64 v[24:25], 2, v[22:23]
	s_mov_b64 s[4:5], 0
.LBB6_228:                              ;   Parent Loop BB6_7 Depth=1
                                        ; =>  This Inner Loop Header: Depth=2
	v_lshl_add_u64 v[26:27], s[22:23], 0, v[24:25]
	global_load_dword v20, v[26:27], off
	v_lshl_add_u64 v[28:29], s[44:45], 0, v[24:25]
	v_add_u32_e32 v22, s34, v22
	v_cmp_ge_i32_e32 vcc, v22, v21
	v_lshl_add_u64 v[24:25], v[24:25], 0, s[52:53]
	s_or_b64 s[4:5], vcc, s[4:5]
	s_waitcnt vmcnt(0)
	v_mul_f32_e32 v20, v4, v20
	global_store_dword v[26:27], v20, off
	global_load_dword v20, v[28:29], off
	s_waitcnt vmcnt(0)
	v_mul_f32_e32 v20, v4, v20
	global_store_dword v[28:29], v20, off
	s_andn2_b64 exec, exec, s[4:5]
	s_cbranch_execnz .LBB6_228
	s_branch .LBB6_4
.LBB6_229:
	v_cmp_gt_i32_e32 vcc, s40, v0
	s_and_saveexec_b64 s[0:1], vcc
	s_cbranch_execz .LBB6_235
; %bb.230:
	s_lshl_b64 s[2:3], s[38:39], 2
	s_add_u32 s2, s18, s2
	s_addc_u32 s3, s19, s3
	s_lshl_b64 s[4:5], s[42:43], 2
	s_add_u32 s4, s24, s4
	v_ashrrev_i32_e32 v1, 31, v0
	s_addc_u32 s5, s25, s5
	s_ashr_i32 s35, s34, 31
	v_lshl_add_u64 v[2:3], v[0:1], 2, s[4:5]
	s_lshl_b64 s[4:5], s[34:35], 2
	s_mov_b64 s[6:7], 0
	v_mov_b32_e32 v1, 0
	s_branch .LBB6_232
.LBB6_231:                              ;   in Loop: Header=BB6_232 Depth=1
	s_or_b64 exec, exec, s[18:19]
	v_add_u32_e32 v0, s34, v0
	v_cmp_le_i32_e32 vcc, s40, v0
	s_or_b64 s[6:7], vcc, s[6:7]
	v_lshl_add_u64 v[2:3], v[2:3], 0, s[4:5]
	s_andn2_b64 exec, exec, s[6:7]
	s_cbranch_execz .LBB6_235
.LBB6_232:                              ; =>This Inner Loop Header: Depth=1
	global_load_dword v4, v[2:3], off
	s_waitcnt vmcnt(0)
	v_cmp_neq_f32_e32 vcc, 0, v4
	s_and_saveexec_b64 s[18:19], vcc
	s_cbranch_execz .LBB6_231
; %bb.233:                              ;   in Loop: Header=BB6_232 Depth=1
	s_mov_b64 s[24:25], exec
	v_mbcnt_lo_u32_b32 v4, s24, 0
	v_mbcnt_hi_u32_b32 v4, s25, v4
	v_cmp_eq_u32_e32 vcc, 0, v4
	s_and_b64 s[28:29], exec, vcc
	s_mov_b64 exec, s[28:29]
	s_cbranch_execz .LBB6_231
; %bb.234:                              ;   in Loop: Header=BB6_232 Depth=1
	s_bcnt1_i32_b64 s11, s[24:25]
	v_mov_b32_e32 v4, s11
	global_atomic_add v1, v4, s[2:3]
	s_branch .LBB6_231
.LBB6_235:
	s_or_b64 exec, exec, s[0:1]
	s_cmp_lt_i32 s10, 2
	s_cbranch_scc1 .LBB6_248
; %bb.236:
	s_add_u32 s0, s20, s36
	s_addc_u32 s1, s21, s37
	s_add_u32 s0, s0, 4
	s_addc_u32 s1, s1, 0
	s_lshl_b64 s[2:3], s[16:17], 2
	s_lshl_b64 s[4:5], s[26:27], 2
	s_add_u32 s2, s2, s4
	s_addc_u32 s3, s3, s5
	s_add_u32 s11, s12, s2
	s_addc_u32 s14, s13, s3
	s_mov_b32 s2, 1
	v_mov_b32_e32 v0, 0
	s_branch .LBB6_238
.LBB6_237:                              ;   in Loop: Header=BB6_238 Depth=1
	s_add_i32 s2, s2, 1
	s_add_u32 s0, s0, 4
	s_addc_u32 s1, s1, 0
	s_cmp_lg_u32 s2, s10
	s_barrier
	s_cbranch_scc0 .LBB6_248
.LBB6_238:                              ; =>This Loop Header: Depth=1
                                        ;     Child Loop BB6_241 Depth 2
                                        ;     Child Loop BB6_247 Depth 2
	s_and_saveexec_b64 s[4:5], s[8:9]
	s_cbranch_execz .LBB6_245
; %bb.239:                              ;   in Loop: Header=BB6_238 Depth=1
	s_ashr_i32 s3, s2, 31
	s_add_i32 s13, s2, -1
	s_lshl_b64 s[6:7], s[2:3], 2
	s_add_u32 s6, s22, s6
	s_addc_u32 s7, s23, s7
	global_load_dword v1, v0, s[6:7] offset:-4
	v_mov_b32_e32 v2, s13
	v_mov_b32_e32 v3, s13
	s_mov_b64 s[16:17], s[0:1]
	s_mov_b32 s3, s2
	s_mov_b32 s12, s13
	ds_write_b64 v0, v[2:3]
	s_waitcnt vmcnt(0)
	ds_write_b32 v0, v1 offset:8
	v_mov_b32_e32 v2, v1
	s_branch .LBB6_241
.LBB6_240:                              ;   in Loop: Header=BB6_241 Depth=2
	s_add_i32 s3, s3, 1
	s_add_u32 s16, s16, 4
	s_addc_u32 s17, s17, 0
	s_cmp_eq_u32 s10, s3
	s_cbranch_scc1 .LBB6_243
.LBB6_241:                              ;   Parent Loop BB6_238 Depth=1
                                        ; =>  This Inner Loop Header: Depth=2
	global_load_dword v3, v0, s[16:17]
	s_waitcnt vmcnt(0)
	v_cmp_nlt_f32_e32 vcc, v3, v2
	s_cbranch_vccnz .LBB6_240
; %bb.242:                              ;   in Loop: Header=BB6_241 Depth=2
	v_mov_b32_e32 v2, s3
	ds_write2_b32 v0, v2, v3 offset0:1 offset1:2
	s_mov_b32 s12, s3
	v_mov_b32_e32 v2, v3
	s_branch .LBB6_240
.LBB6_243:                              ;   in Loop: Header=BB6_238 Depth=1
	s_cmp_lg_u32 s12, s13
	s_cbranch_scc0 .LBB6_245
; %bb.244:                              ;   in Loop: Header=BB6_238 Depth=1
	s_ashr_i32 s13, s12, 31
	s_lshl_b64 s[12:13], s[12:13], 2
	s_add_u32 s12, s22, s12
	s_addc_u32 s13, s23, s13
	global_store_dword v0, v1, s[12:13]
	global_store_dword v0, v2, s[6:7] offset:-4
.LBB6_245:                              ;   in Loop: Header=BB6_238 Depth=1
	s_or_b64 exec, exec, s[4:5]
	s_waitcnt lgkmcnt(0)
	s_barrier
	ds_read_b64 v[2:3], v0
	s_waitcnt lgkmcnt(0)
	v_readfirstlane_b32 s3, v2
	v_readfirstlane_b32 s4, v3
	s_cmp_eq_u32 s4, s3
	s_cbranch_scc1 .LBB6_237
; %bb.246:                              ;   in Loop: Header=BB6_238 Depth=1
	s_mul_i32 s4, s4, s15
	s_ashr_i32 s5, s4, 31
	s_lshl_b64 s[4:5], s[4:5], 2
	s_mul_i32 s6, s3, s15
	s_add_u32 s4, s11, s4
	s_addc_u32 s5, s14, s5
	s_ashr_i32 s7, s6, 31
	s_lshl_b64 s[6:7], s[6:7], 2
	s_add_u32 s6, s11, s6
	s_addc_u32 s7, s14, s7
	s_mov_b32 s3, s10
.LBB6_247:                              ;   Parent Loop BB6_238 Depth=1
                                        ; =>  This Inner Loop Header: Depth=2
	global_load_dword v1, v0, s[4:5]
	global_load_dword v2, v0, s[6:7]
	s_add_i32 s3, s3, -1
	s_waitcnt vmcnt(1)
	global_store_dword v0, v1, s[6:7]
	s_waitcnt vmcnt(1)
	global_store_dword v0, v2, s[4:5]
	s_add_u32 s4, s4, 4
	s_addc_u32 s5, s5, 0
	s_add_u32 s6, s6, 4
	s_addc_u32 s7, s7, 0
	s_cmp_lg_u32 s3, 0
	s_cbranch_scc1 .LBB6_247
	s_branch .LBB6_237
.LBB6_248:
	s_endpgm
	.section	.rodata,"a",@progbits
	.p2align	6, 0x0
	.amdhsa_kernel _ZN9rocsolver6v33100L12steqr_kernelIffPfEEviPT0_lS4_lT1_iilPiS4_iS3_S3_S3_
		.amdhsa_group_segment_fixed_size 36
		.amdhsa_private_segment_fixed_size 0
		.amdhsa_kernarg_size 352
		.amdhsa_user_sgpr_count 2
		.amdhsa_user_sgpr_dispatch_ptr 0
		.amdhsa_user_sgpr_queue_ptr 0
		.amdhsa_user_sgpr_kernarg_segment_ptr 1
		.amdhsa_user_sgpr_dispatch_id 0
		.amdhsa_user_sgpr_kernarg_preload_length 0
		.amdhsa_user_sgpr_kernarg_preload_offset 0
		.amdhsa_user_sgpr_private_segment_size 0
		.amdhsa_uses_dynamic_stack 0
		.amdhsa_enable_private_segment 0
		.amdhsa_system_sgpr_workgroup_id_x 1
		.amdhsa_system_sgpr_workgroup_id_y 1
		.amdhsa_system_sgpr_workgroup_id_z 0
		.amdhsa_system_sgpr_workgroup_info 0
		.amdhsa_system_vgpr_workitem_id 0
		.amdhsa_next_free_vgpr 64
		.amdhsa_next_free_sgpr 100
		.amdhsa_accum_offset 64
		.amdhsa_reserve_vcc 1
		.amdhsa_float_round_mode_32 0
		.amdhsa_float_round_mode_16_64 0
		.amdhsa_float_denorm_mode_32 3
		.amdhsa_float_denorm_mode_16_64 3
		.amdhsa_dx10_clamp 1
		.amdhsa_ieee_mode 1
		.amdhsa_fp16_overflow 0
		.amdhsa_tg_split 0
		.amdhsa_exception_fp_ieee_invalid_op 0
		.amdhsa_exception_fp_denorm_src 0
		.amdhsa_exception_fp_ieee_div_zero 0
		.amdhsa_exception_fp_ieee_overflow 0
		.amdhsa_exception_fp_ieee_underflow 0
		.amdhsa_exception_fp_ieee_inexact 0
		.amdhsa_exception_int_div_zero 0
	.end_amdhsa_kernel
	.section	.text._ZN9rocsolver6v33100L12steqr_kernelIffPfEEviPT0_lS4_lT1_iilPiS4_iS3_S3_S3_,"axG",@progbits,_ZN9rocsolver6v33100L12steqr_kernelIffPfEEviPT0_lS4_lT1_iilPiS4_iS3_S3_S3_,comdat
.Lfunc_end6:
	.size	_ZN9rocsolver6v33100L12steqr_kernelIffPfEEviPT0_lS4_lT1_iilPiS4_iS3_S3_S3_, .Lfunc_end6-_ZN9rocsolver6v33100L12steqr_kernelIffPfEEviPT0_lS4_lT1_iilPiS4_iS3_S3_S3_
                                        ; -- End function
	.set _ZN9rocsolver6v33100L12steqr_kernelIffPfEEviPT0_lS4_lT1_iilPiS4_iS3_S3_S3_.num_vgpr, 64
	.set _ZN9rocsolver6v33100L12steqr_kernelIffPfEEviPT0_lS4_lT1_iilPiS4_iS3_S3_S3_.num_agpr, 0
	.set _ZN9rocsolver6v33100L12steqr_kernelIffPfEEviPT0_lS4_lT1_iilPiS4_iS3_S3_S3_.numbered_sgpr, 100
	.set _ZN9rocsolver6v33100L12steqr_kernelIffPfEEviPT0_lS4_lT1_iilPiS4_iS3_S3_S3_.num_named_barrier, 0
	.set _ZN9rocsolver6v33100L12steqr_kernelIffPfEEviPT0_lS4_lT1_iilPiS4_iS3_S3_S3_.private_seg_size, 0
	.set _ZN9rocsolver6v33100L12steqr_kernelIffPfEEviPT0_lS4_lT1_iilPiS4_iS3_S3_S3_.uses_vcc, 1
	.set _ZN9rocsolver6v33100L12steqr_kernelIffPfEEviPT0_lS4_lT1_iilPiS4_iS3_S3_S3_.uses_flat_scratch, 0
	.set _ZN9rocsolver6v33100L12steqr_kernelIffPfEEviPT0_lS4_lT1_iilPiS4_iS3_S3_S3_.has_dyn_sized_stack, 0
	.set _ZN9rocsolver6v33100L12steqr_kernelIffPfEEviPT0_lS4_lT1_iilPiS4_iS3_S3_S3_.has_recursion, 0
	.set _ZN9rocsolver6v33100L12steqr_kernelIffPfEEviPT0_lS4_lT1_iilPiS4_iS3_S3_S3_.has_indirect_call, 0
	.section	.AMDGPU.csdata,"",@progbits
; Kernel info:
; codeLenInByte = 13280
; TotalNumSgprs: 106
; NumVgprs: 64
; NumAgprs: 0
; TotalNumVgprs: 64
; ScratchSize: 0
; MemoryBound: 0
; FloatMode: 240
; IeeeMode: 1
; LDSByteSize: 36 bytes/workgroup (compile time only)
; SGPRBlocks: 13
; VGPRBlocks: 7
; NumSGPRsForWavesPerEU: 106
; NumVGPRsForWavesPerEU: 64
; AccumOffset: 64
; Occupancy: 7
; WaveLimiterHint : 0
; COMPUTE_PGM_RSRC2:SCRATCH_EN: 0
; COMPUTE_PGM_RSRC2:USER_SGPR: 2
; COMPUTE_PGM_RSRC2:TRAP_HANDLER: 0
; COMPUTE_PGM_RSRC2:TGID_X_EN: 1
; COMPUTE_PGM_RSRC2:TGID_Y_EN: 1
; COMPUTE_PGM_RSRC2:TGID_Z_EN: 0
; COMPUTE_PGM_RSRC2:TIDIG_COMP_CNT: 0
; COMPUTE_PGM_RSRC3_GFX90A:ACCUM_OFFSET: 15
; COMPUTE_PGM_RSRC3_GFX90A:TG_SPLIT: 0
	.section	.text._ZN9rocsolver6v33100L16reset_batch_infoIdiiPdEEvT2_lT0_T1_,"axG",@progbits,_ZN9rocsolver6v33100L16reset_batch_infoIdiiPdEEvT2_lT0_T1_,comdat
	.globl	_ZN9rocsolver6v33100L16reset_batch_infoIdiiPdEEvT2_lT0_T1_ ; -- Begin function _ZN9rocsolver6v33100L16reset_batch_infoIdiiPdEEvT2_lT0_T1_
	.p2align	8
	.type	_ZN9rocsolver6v33100L16reset_batch_infoIdiiPdEEvT2_lT0_T1_,@function
_ZN9rocsolver6v33100L16reset_batch_infoIdiiPdEEvT2_lT0_T1_: ; @_ZN9rocsolver6v33100L16reset_batch_infoIdiiPdEEvT2_lT0_T1_
; %bb.0:
	s_load_dword s6, s[0:1], 0x24
	s_load_dwordx2 s[4:5], s[0:1], 0x10
	s_waitcnt lgkmcnt(0)
	s_and_b32 s6, s6, 0xffff
	s_mul_i32 s2, s2, s6
	v_add_u32_e32 v0, s2, v0
	v_cmp_gt_i32_e32 vcc, s4, v0
	s_and_saveexec_b64 s[6:7], vcc
	s_cbranch_execz .LBB7_2
; %bb.1:
	s_load_dwordx4 s[8:11], s[0:1], 0x0
	s_ashr_i32 s0, s3, 31
	v_ashrrev_i32_e32 v1, 31, v0
	v_cvt_f64_i32_e32 v[2:3], s5
	s_waitcnt lgkmcnt(0)
	s_mul_hi_u32 s1, s10, s3
	s_mul_i32 s2, s10, s0
	s_mul_i32 s4, s11, s3
	s_add_i32 s1, s1, s2
	s_mul_i32 s0, s10, s3
	s_add_i32 s1, s1, s4
	s_lshl_b64 s[0:1], s[0:1], 3
	s_add_u32 s0, s8, s0
	s_addc_u32 s1, s9, s1
	v_lshl_add_u64 v[0:1], v[0:1], 3, s[0:1]
	global_store_dwordx2 v[0:1], v[2:3], off
.LBB7_2:
	s_endpgm
	.section	.rodata,"a",@progbits
	.p2align	6, 0x0
	.amdhsa_kernel _ZN9rocsolver6v33100L16reset_batch_infoIdiiPdEEvT2_lT0_T1_
		.amdhsa_group_segment_fixed_size 0
		.amdhsa_private_segment_fixed_size 0
		.amdhsa_kernarg_size 280
		.amdhsa_user_sgpr_count 2
		.amdhsa_user_sgpr_dispatch_ptr 0
		.amdhsa_user_sgpr_queue_ptr 0
		.amdhsa_user_sgpr_kernarg_segment_ptr 1
		.amdhsa_user_sgpr_dispatch_id 0
		.amdhsa_user_sgpr_kernarg_preload_length 0
		.amdhsa_user_sgpr_kernarg_preload_offset 0
		.amdhsa_user_sgpr_private_segment_size 0
		.amdhsa_uses_dynamic_stack 0
		.amdhsa_enable_private_segment 0
		.amdhsa_system_sgpr_workgroup_id_x 1
		.amdhsa_system_sgpr_workgroup_id_y 1
		.amdhsa_system_sgpr_workgroup_id_z 0
		.amdhsa_system_sgpr_workgroup_info 0
		.amdhsa_system_vgpr_workitem_id 0
		.amdhsa_next_free_vgpr 4
		.amdhsa_next_free_sgpr 12
		.amdhsa_accum_offset 4
		.amdhsa_reserve_vcc 1
		.amdhsa_float_round_mode_32 0
		.amdhsa_float_round_mode_16_64 0
		.amdhsa_float_denorm_mode_32 3
		.amdhsa_float_denorm_mode_16_64 3
		.amdhsa_dx10_clamp 1
		.amdhsa_ieee_mode 1
		.amdhsa_fp16_overflow 0
		.amdhsa_tg_split 0
		.amdhsa_exception_fp_ieee_invalid_op 0
		.amdhsa_exception_fp_denorm_src 0
		.amdhsa_exception_fp_ieee_div_zero 0
		.amdhsa_exception_fp_ieee_overflow 0
		.amdhsa_exception_fp_ieee_underflow 0
		.amdhsa_exception_fp_ieee_inexact 0
		.amdhsa_exception_int_div_zero 0
	.end_amdhsa_kernel
	.section	.text._ZN9rocsolver6v33100L16reset_batch_infoIdiiPdEEvT2_lT0_T1_,"axG",@progbits,_ZN9rocsolver6v33100L16reset_batch_infoIdiiPdEEvT2_lT0_T1_,comdat
.Lfunc_end7:
	.size	_ZN9rocsolver6v33100L16reset_batch_infoIdiiPdEEvT2_lT0_T1_, .Lfunc_end7-_ZN9rocsolver6v33100L16reset_batch_infoIdiiPdEEvT2_lT0_T1_
                                        ; -- End function
	.set _ZN9rocsolver6v33100L16reset_batch_infoIdiiPdEEvT2_lT0_T1_.num_vgpr, 4
	.set _ZN9rocsolver6v33100L16reset_batch_infoIdiiPdEEvT2_lT0_T1_.num_agpr, 0
	.set _ZN9rocsolver6v33100L16reset_batch_infoIdiiPdEEvT2_lT0_T1_.numbered_sgpr, 12
	.set _ZN9rocsolver6v33100L16reset_batch_infoIdiiPdEEvT2_lT0_T1_.num_named_barrier, 0
	.set _ZN9rocsolver6v33100L16reset_batch_infoIdiiPdEEvT2_lT0_T1_.private_seg_size, 0
	.set _ZN9rocsolver6v33100L16reset_batch_infoIdiiPdEEvT2_lT0_T1_.uses_vcc, 1
	.set _ZN9rocsolver6v33100L16reset_batch_infoIdiiPdEEvT2_lT0_T1_.uses_flat_scratch, 0
	.set _ZN9rocsolver6v33100L16reset_batch_infoIdiiPdEEvT2_lT0_T1_.has_dyn_sized_stack, 0
	.set _ZN9rocsolver6v33100L16reset_batch_infoIdiiPdEEvT2_lT0_T1_.has_recursion, 0
	.set _ZN9rocsolver6v33100L16reset_batch_infoIdiiPdEEvT2_lT0_T1_.has_indirect_call, 0
	.section	.AMDGPU.csdata,"",@progbits
; Kernel info:
; codeLenInByte = 128
; TotalNumSgprs: 18
; NumVgprs: 4
; NumAgprs: 0
; TotalNumVgprs: 4
; ScratchSize: 0
; MemoryBound: 0
; FloatMode: 240
; IeeeMode: 1
; LDSByteSize: 0 bytes/workgroup (compile time only)
; SGPRBlocks: 2
; VGPRBlocks: 0
; NumSGPRsForWavesPerEU: 18
; NumVGPRsForWavesPerEU: 4
; AccumOffset: 4
; Occupancy: 8
; WaveLimiterHint : 0
; COMPUTE_PGM_RSRC2:SCRATCH_EN: 0
; COMPUTE_PGM_RSRC2:USER_SGPR: 2
; COMPUTE_PGM_RSRC2:TRAP_HANDLER: 0
; COMPUTE_PGM_RSRC2:TGID_X_EN: 1
; COMPUTE_PGM_RSRC2:TGID_Y_EN: 1
; COMPUTE_PGM_RSRC2:TGID_Z_EN: 0
; COMPUTE_PGM_RSRC2:TIDIG_COMP_CNT: 0
; COMPUTE_PGM_RSRC3_GFX90A:ACCUM_OFFSET: 0
; COMPUTE_PGM_RSRC3_GFX90A:TG_SPLIT: 0
	.section	.text._ZN9rocsolver6v33100L10init_identIdPdEEviiT0_iil,"axG",@progbits,_ZN9rocsolver6v33100L10init_identIdPdEEviiT0_iil,comdat
	.globl	_ZN9rocsolver6v33100L10init_identIdPdEEviiT0_iil ; -- Begin function _ZN9rocsolver6v33100L10init_identIdPdEEviiT0_iil
	.p2align	8
	.type	_ZN9rocsolver6v33100L10init_identIdPdEEviiT0_iil,@function
_ZN9rocsolver6v33100L10init_identIdPdEEviiT0_iil: ; @_ZN9rocsolver6v33100L10init_identIdPdEEviiT0_iil
; %bb.0:
	s_load_dword s5, s[0:1], 0x2c
	s_load_dwordx2 s[6:7], s[0:1], 0x0
	v_and_b32_e32 v1, 0x3ff, v0
	v_bfe_u32 v0, v0, 10, 10
	s_waitcnt lgkmcnt(0)
	s_lshr_b32 s8, s5, 16
	s_and_b32 s5, s5, 0xffff
	s_mul_i32 s2, s2, s5
	s_mul_i32 s3, s3, s8
	v_add_u32_e32 v2, s2, v1
	v_add_u32_e32 v1, s3, v0
	v_cmp_gt_u32_e32 vcc, s6, v2
	v_cmp_gt_u32_e64 s[2:3], s7, v1
	s_and_b64 s[2:3], vcc, s[2:3]
	s_and_saveexec_b64 s[6:7], s[2:3]
	s_cbranch_execz .LBB8_6
; %bb.1:
	s_load_dwordx2 s[2:3], s[0:1], 0x10
	v_cmp_ne_u32_e32 vcc, v2, v1
                                        ; implicit-def: $vgpr0
	s_and_saveexec_b64 s[6:7], vcc
	s_xor_b64 s[6:7], exec, s[6:7]
	s_cbranch_execz .LBB8_3
; %bb.2:
	s_waitcnt lgkmcnt(0)
	v_mad_u64_u32 v[0:1], s[8:9], v1, s3, v[2:3]
                                        ; implicit-def: $vgpr2
.LBB8_3:
	s_or_saveexec_b64 s[6:7], s[6:7]
	v_mov_b64_e32 v[4:5], 0
	s_xor_b64 exec, exec, s[6:7]
	s_cbranch_execz .LBB8_5
; %bb.4:
	s_waitcnt lgkmcnt(0)
	v_mad_u64_u32 v[0:1], s[8:9], v2, s3, v[2:3]
	v_mov_b64_e32 v[4:5], 1.0
.LBB8_5:
	s_or_b64 exec, exec, s[6:7]
	s_load_dwordx2 s[6:7], s[0:1], 0x18
	s_load_dwordx2 s[8:9], s[0:1], 0x8
	s_waitcnt lgkmcnt(0)
	s_ashr_i32 s3, s2, 31
	v_mov_b32_e32 v1, 0
	s_mul_i32 s1, s7, s4
	s_mul_hi_u32 s5, s6, s4
	s_mul_i32 s0, s6, s4
	s_add_i32 s1, s5, s1
	s_lshl_b64 s[0:1], s[0:1], 3
	s_add_u32 s4, s8, s0
	s_addc_u32 s5, s9, s1
	s_lshl_b64 s[0:1], s[2:3], 3
	s_add_u32 s0, s4, s0
	s_addc_u32 s1, s5, s1
	v_lshl_add_u64 v[0:1], v[0:1], 3, s[0:1]
	global_store_dwordx2 v[0:1], v[4:5], off
.LBB8_6:
	s_endpgm
	.section	.rodata,"a",@progbits
	.p2align	6, 0x0
	.amdhsa_kernel _ZN9rocsolver6v33100L10init_identIdPdEEviiT0_iil
		.amdhsa_group_segment_fixed_size 0
		.amdhsa_private_segment_fixed_size 0
		.amdhsa_kernarg_size 288
		.amdhsa_user_sgpr_count 2
		.amdhsa_user_sgpr_dispatch_ptr 0
		.amdhsa_user_sgpr_queue_ptr 0
		.amdhsa_user_sgpr_kernarg_segment_ptr 1
		.amdhsa_user_sgpr_dispatch_id 0
		.amdhsa_user_sgpr_kernarg_preload_length 0
		.amdhsa_user_sgpr_kernarg_preload_offset 0
		.amdhsa_user_sgpr_private_segment_size 0
		.amdhsa_uses_dynamic_stack 0
		.amdhsa_enable_private_segment 0
		.amdhsa_system_sgpr_workgroup_id_x 1
		.amdhsa_system_sgpr_workgroup_id_y 1
		.amdhsa_system_sgpr_workgroup_id_z 1
		.amdhsa_system_sgpr_workgroup_info 0
		.amdhsa_system_vgpr_workitem_id 1
		.amdhsa_next_free_vgpr 6
		.amdhsa_next_free_sgpr 10
		.amdhsa_accum_offset 8
		.amdhsa_reserve_vcc 1
		.amdhsa_float_round_mode_32 0
		.amdhsa_float_round_mode_16_64 0
		.amdhsa_float_denorm_mode_32 3
		.amdhsa_float_denorm_mode_16_64 3
		.amdhsa_dx10_clamp 1
		.amdhsa_ieee_mode 1
		.amdhsa_fp16_overflow 0
		.amdhsa_tg_split 0
		.amdhsa_exception_fp_ieee_invalid_op 0
		.amdhsa_exception_fp_denorm_src 0
		.amdhsa_exception_fp_ieee_div_zero 0
		.amdhsa_exception_fp_ieee_overflow 0
		.amdhsa_exception_fp_ieee_underflow 0
		.amdhsa_exception_fp_ieee_inexact 0
		.amdhsa_exception_int_div_zero 0
	.end_amdhsa_kernel
	.section	.text._ZN9rocsolver6v33100L10init_identIdPdEEviiT0_iil,"axG",@progbits,_ZN9rocsolver6v33100L10init_identIdPdEEviiT0_iil,comdat
.Lfunc_end8:
	.size	_ZN9rocsolver6v33100L10init_identIdPdEEviiT0_iil, .Lfunc_end8-_ZN9rocsolver6v33100L10init_identIdPdEEviiT0_iil
                                        ; -- End function
	.set _ZN9rocsolver6v33100L10init_identIdPdEEviiT0_iil.num_vgpr, 6
	.set _ZN9rocsolver6v33100L10init_identIdPdEEviiT0_iil.num_agpr, 0
	.set _ZN9rocsolver6v33100L10init_identIdPdEEviiT0_iil.numbered_sgpr, 10
	.set _ZN9rocsolver6v33100L10init_identIdPdEEviiT0_iil.num_named_barrier, 0
	.set _ZN9rocsolver6v33100L10init_identIdPdEEviiT0_iil.private_seg_size, 0
	.set _ZN9rocsolver6v33100L10init_identIdPdEEviiT0_iil.uses_vcc, 1
	.set _ZN9rocsolver6v33100L10init_identIdPdEEviiT0_iil.uses_flat_scratch, 0
	.set _ZN9rocsolver6v33100L10init_identIdPdEEviiT0_iil.has_dyn_sized_stack, 0
	.set _ZN9rocsolver6v33100L10init_identIdPdEEviiT0_iil.has_recursion, 0
	.set _ZN9rocsolver6v33100L10init_identIdPdEEviiT0_iil.has_indirect_call, 0
	.section	.AMDGPU.csdata,"",@progbits
; Kernel info:
; codeLenInByte = 248
; TotalNumSgprs: 16
; NumVgprs: 6
; NumAgprs: 0
; TotalNumVgprs: 6
; ScratchSize: 0
; MemoryBound: 0
; FloatMode: 240
; IeeeMode: 1
; LDSByteSize: 0 bytes/workgroup (compile time only)
; SGPRBlocks: 1
; VGPRBlocks: 0
; NumSGPRsForWavesPerEU: 16
; NumVGPRsForWavesPerEU: 6
; AccumOffset: 8
; Occupancy: 8
; WaveLimiterHint : 0
; COMPUTE_PGM_RSRC2:SCRATCH_EN: 0
; COMPUTE_PGM_RSRC2:USER_SGPR: 2
; COMPUTE_PGM_RSRC2:TRAP_HANDLER: 0
; COMPUTE_PGM_RSRC2:TGID_X_EN: 1
; COMPUTE_PGM_RSRC2:TGID_Y_EN: 1
; COMPUTE_PGM_RSRC2:TGID_Z_EN: 1
; COMPUTE_PGM_RSRC2:TIDIG_COMP_CNT: 1
; COMPUTE_PGM_RSRC3_GFX90A:ACCUM_OFFSET: 1
; COMPUTE_PGM_RSRC3_GFX90A:TG_SPLIT: 0
	.section	.text._ZN9rocsolver6v33100L12sterf_kernelIdEEviPT_lS3_lPiS4_iS2_S2_S2_,"axG",@progbits,_ZN9rocsolver6v33100L12sterf_kernelIdEEviPT_lS3_lPiS4_iS2_S2_S2_,comdat
	.globl	_ZN9rocsolver6v33100L12sterf_kernelIdEEviPT_lS3_lPiS4_iS2_S2_S2_ ; -- Begin function _ZN9rocsolver6v33100L12sterf_kernelIdEEviPT_lS3_lPiS4_iS2_S2_S2_
	.p2align	8
	.type	_ZN9rocsolver6v33100L12sterf_kernelIdEEviPT_lS3_lPiS4_iS2_S2_S2_,@function
_ZN9rocsolver6v33100L12sterf_kernelIdEEviPT_lS3_lPiS4_iS2_S2_S2_: ; @_ZN9rocsolver6v33100L12sterf_kernelIdEEviPT_lS3_lPiS4_iS2_S2_S2_
; %bb.0:
	s_load_dwordx8 s[12:19], s[0:1], 0x8
	s_load_dword s33, s[0:1], 0x0
	s_load_dword s60, s[0:1], 0x38
	s_ashr_i32 s3, s2, 31
	s_waitcnt lgkmcnt(0)
	s_mul_hi_u32 s4, s14, s2
	s_mul_i32 s5, s14, s3
	s_add_i32 s4, s4, s5
	s_mul_i32 s5, s15, s2
	s_add_i32 s5, s4, s5
	s_mul_i32 s4, s14, s2
	s_lshl_b64 s[10:11], s[4:5], 3
	s_add_u32 s58, s12, s10
	s_mul_hi_u32 s4, s18, s2
	s_mul_i32 s5, s18, s3
	s_addc_u32 s59, s13, s11
	s_add_i32 s4, s4, s5
	s_mul_i32 s5, s19, s2
	s_add_i32 s5, s4, s5
	s_mul_i32 s4, s18, s2
	s_lshl_b64 s[4:5], s[4:5], 3
	s_add_u32 s14, s16, s4
	s_addc_u32 s15, s17, s5
	s_min_i32 s6, s33, s60
	s_cmp_lt_i32 s6, 1
	s_cbranch_scc1 .LBB9_148
; %bb.1:
	s_add_i32 s61, s33, -1
	s_add_u32 s62, s16, s4
	s_addc_u32 s63, s17, s5
	s_add_u32 s64, s62, -8
	s_addc_u32 s65, s63, -1
	s_add_u32 s66, s12, s10
	s_load_dwordx4 s[20:23], s[0:1], 0x40
	s_load_dwordx2 s[18:19], s[0:1], 0x50
	s_addc_u32 s67, s13, s11
	s_add_u32 s68, s66, 8
	s_addc_u32 s69, s67, 0
	s_add_u32 s70, s62, 8
	v_mov_b32_e32 v2, 0
	s_mov_b32 s16, 0
	s_mov_b32 s24, 0x667f3bcd
	s_waitcnt lgkmcnt(0)
	v_mul_f64 v[0:1], s[20:21], s[20:21]
	s_addc_u32 s71, s63, 0
	s_mov_b32 s72, 0
	s_brev_b32 s17, 8
	v_mov_b32_e32 v24, 0x260
	s_mov_b32 s25, 0x3ff6a09e
	v_mov_b32_e32 v3, v2
	s_mov_b32 s27, 0
	s_mov_b32 s73, 0
	s_branch .LBB9_3
.LBB9_2:                                ;   in Loop: Header=BB9_3 Depth=1
	s_andn2_b64 vcc, exec, s[8:9]
	s_cbranch_vccz .LBB9_20
.LBB9_3:                                ; =>This Loop Header: Depth=1
                                        ;     Child Loop BB9_7 Depth 2
                                        ;     Child Loop BB9_14 Depth 2
	;; [unrolled: 1-line block ×6, first 2 shown]
                                        ;       Child Loop BB9_56 Depth 3
                                        ;       Child Loop BB9_68 Depth 3
                                        ;     Child Loop BB9_102 Depth 2
                                        ;       Child Loop BB9_104 Depth 3
                                        ;       Child Loop BB9_117 Depth 3
                                        ;     Child Loop BB9_46 Depth 2
                                        ;     Child Loop BB9_50 Depth 2
	s_mov_b32 s26, s27
	s_cmp_lt_i32 s27, 1
	s_cbranch_scc1 .LBB9_5
; %bb.4:                                ;   in Loop: Header=BB9_3 Depth=1
	s_mov_b32 s27, s72
	s_lshl_b64 s[4:5], s[26:27], 3
	s_add_u32 s4, s14, s4
	s_addc_u32 s5, s15, s5
	global_store_dwordx2 v2, v[2:3], s[4:5] offset:-8
.LBB9_5:                                ;   in Loop: Header=BB9_3 Depth=1
	s_ashr_i32 s27, s26, 31
	s_lshl_b64 s[30:31], s[26:27], 3
	s_add_u32 s6, s64, s30
	s_addc_u32 s7, s65, s31
	s_add_u32 s4, s68, s30
	s_addc_u32 s5, s69, s31
	s_mov_b32 s28, s26
	s_mov_b64 s[8:9], -1
	s_cmp_ge_i32 s28, s61
	s_mov_b64 s[34:35], -1
                                        ; implicit-def: $sgpr27
	s_cbranch_scc1 .LBB9_7
.LBB9_6:                                ;   in Loop: Header=BB9_3 Depth=1
	global_load_dwordx4 v[4:7], v2, s[4:5] offset:-8
	global_load_dwordx2 v[8:9], v2, s[6:7] offset:8
	s_add_u32 s6, s6, 8
	s_addc_u32 s7, s7, 0
	s_mov_b64 s[8:9], 0
	s_waitcnt vmcnt(1)
	v_cmp_lt_f64_e64 s[34:35], |v[4:5]|, s[16:17]
	s_and_b64 s[34:35], s[34:35], exec
	v_cmp_lt_f64_e64 s[36:37], |v[6:7]|, s[16:17]
	s_cselect_b32 s29, 0x100, 0
	s_cselect_b32 s38, 0xffffff80, 0
	s_add_i32 s27, s28, 1
	v_ldexp_f64 v[4:5], |v[4:5]|, s29
	s_and_b64 s[34:35], s[36:37], exec
	v_rsq_f64_e32 v[10:11], v[4:5]
	s_cselect_b32 s29, 0x100, 0
	v_ldexp_f64 v[6:7], |v[6:7]|, s29
	v_rsq_f64_e32 v[12:13], v[6:7]
	v_mul_f64 v[14:15], v[4:5], v[10:11]
	v_mul_f64 v[10:11], v[10:11], 0.5
	v_fma_f64 v[16:17], -v[10:11], v[14:15], 0.5
	v_fmac_f64_e32 v[14:15], v[14:15], v[16:17]
	v_fmac_f64_e32 v[10:11], v[10:11], v[16:17]
	v_mul_f64 v[16:17], v[6:7], v[12:13]
	v_mul_f64 v[12:13], v[12:13], 0.5
	v_fma_f64 v[18:19], -v[14:15], v[14:15], v[4:5]
	v_fma_f64 v[20:21], -v[12:13], v[16:17], 0.5
	v_fmac_f64_e32 v[14:15], v[18:19], v[10:11]
	v_fmac_f64_e32 v[16:17], v[16:17], v[20:21]
	;; [unrolled: 1-line block ×3, first 2 shown]
	v_fma_f64 v[18:19], -v[14:15], v[14:15], v[4:5]
	v_fma_f64 v[20:21], -v[16:17], v[16:17], v[6:7]
	v_fmac_f64_e32 v[14:15], v[18:19], v[10:11]
	v_fmac_f64_e32 v[16:17], v[20:21], v[12:13]
	v_ldexp_f64 v[10:11], v[14:15], s38
	v_fma_f64 v[14:15], -v[16:17], v[16:17], v[6:7]
	s_cselect_b32 s34, 0xffffff80, 0
	v_cmp_class_f64_e32 vcc, v[4:5], v24
	v_fmac_f64_e32 v[16:17], v[14:15], v[12:13]
	s_add_u32 s4, s4, 8
	v_cndmask_b32_e32 v5, v11, v5, vcc
	v_cndmask_b32_e32 v4, v10, v4, vcc
	v_ldexp_f64 v[10:11], v[16:17], s34
	v_cmp_class_f64_e32 vcc, v[6:7], v24
	s_addc_u32 s5, s5, 0
	s_nop 0
	v_cndmask_b32_e32 v7, v11, v7, vcc
	v_cndmask_b32_e32 v6, v10, v6, vcc
	v_mul_f64 v[4:5], v[4:5], v[6:7]
	v_mul_f64 v[4:5], s[20:21], v[4:5]
	s_waitcnt vmcnt(0)
	v_cmp_le_f64_e64 s[34:35], |v[8:9]|, v[4:5]
.LBB9_7:                                ;   Parent Loop BB9_3 Depth=1
                                        ; =>  This Inner Loop Header: Depth=2
	s_andn2_b64 vcc, exec, s[34:35]
	s_cbranch_vccz .LBB9_9
; %bb.8:                                ;   in Loop: Header=BB9_7 Depth=2
	s_mov_b32 s28, s27
	s_mov_b64 s[8:9], -1
	s_cmp_ge_i32 s28, s61
	s_mov_b64 s[34:35], -1
                                        ; implicit-def: $sgpr27
	s_cbranch_scc0 .LBB9_6
	s_branch .LBB9_7
.LBB9_9:                                ;   in Loop: Header=BB9_3 Depth=1
	s_andn2_b64 vcc, exec, s[8:9]
	s_mov_b64 s[4:5], -1
	s_cbranch_vccnz .LBB9_16
; %bb.10:                               ;   in Loop: Header=BB9_3 Depth=1
	s_andn2_b64 vcc, exec, s[4:5]
	s_cbranch_vccz .LBB9_17
.LBB9_11:                               ;   in Loop: Header=BB9_3 Depth=1
	s_cmp_lg_u32 s28, s26
	s_mov_b64 s[6:7], -1
	s_cbranch_scc0 .LBB9_18
.LBB9_12:                               ;   in Loop: Header=BB9_3 Depth=1
	s_ashr_i32 s29, s28, 31
	s_lshl_b64 s[4:5], s[28:29], 3
	s_add_u32 s34, s58, s4
	s_addc_u32 s35, s59, s5
	global_load_dwordx2 v[6:7], v2, s[34:35]
	s_cmp_lt_i32 s26, s28
	s_cselect_b64 s[4:5], -1, 0
	s_cmp_ge_i32 s26, s28
	s_waitcnt vmcnt(0)
	v_and_b32_e32 v5, 0x7fffffff, v7
	v_mov_b32_e32 v4, v6
	s_cbranch_scc1 .LBB9_15
; %bb.13:                               ;   in Loop: Header=BB9_3 Depth=1
	s_add_u32 s8, s66, s30
	s_addc_u32 s9, s67, s31
	s_add_u32 s36, s62, s30
	s_addc_u32 s37, s63, s31
	s_mov_b32 s29, s26
.LBB9_14:                               ;   Parent Loop BB9_3 Depth=1
                                        ; =>  This Inner Loop Header: Depth=2
	global_load_dwordx2 v[8:9], v2, s[36:37]
	global_load_dwordx2 v[10:11], v2, s[8:9]
	s_add_i32 s29, s29, 1
	s_add_u32 s8, s8, 8
	s_addc_u32 s9, s9, 0
	s_add_u32 s36, s36, 8
	v_max_f64 v[4:5], v[4:5], v[4:5]
	s_addc_u32 s37, s37, 0
	s_cmp_lt_i32 s29, s28
	s_waitcnt vmcnt(1)
	v_max_f64 v[8:9], |v[8:9]|, |v[8:9]|
	s_waitcnt vmcnt(0)
	v_max_f64 v[10:11], |v[10:11]|, |v[10:11]|
	v_max_f64 v[8:9], v[10:11], v[8:9]
	v_max_f64 v[4:5], v[4:5], v[8:9]
	s_cbranch_scc1 .LBB9_14
.LBB9_15:                               ;   in Loop: Header=BB9_3 Depth=1
	v_cmp_eq_f64_e64 s[8:9], 0, v[4:5]
	s_and_b64 vcc, exec, s[8:9]
	s_mov_b64 s[8:9], -1
	s_cbranch_vccz .LBB9_2
	s_branch .LBB9_19
.LBB9_16:                               ;   in Loop: Header=BB9_3 Depth=1
	global_store_dwordx2 v2, v[2:3], s[6:7]
	s_cbranch_execnz .LBB9_11
.LBB9_17:                               ;   in Loop: Header=BB9_3 Depth=1
	s_max_i32 s28, s26, s61
	s_add_i32 s27, s28, 1
	s_cmp_lg_u32 s28, s26
	s_mov_b64 s[6:7], -1
	s_cbranch_scc1 .LBB9_12
.LBB9_18:                               ;   in Loop: Header=BB9_3 Depth=1
                                        ; implicit-def: $sgpr34_sgpr35
                                        ; implicit-def: $vgpr6_vgpr7
                                        ; implicit-def: $sgpr4_sgpr5
                                        ; implicit-def: $vgpr4_vgpr5
	s_mov_b64 s[8:9], -1
	s_cbranch_execz .LBB9_2
.LBB9_19:                               ;   in Loop: Header=BB9_3 Depth=1
	s_cmp_ge_i32 s27, s33
	s_mov_b64 s[6:7], 0
	s_cselect_b64 s[8:9], -1, 0
	s_branch .LBB9_2
.LBB9_20:                               ;   in Loop: Header=BB9_3 Depth=1
	s_mov_b64 s[8:9], -1
	s_and_b64 vcc, exec, s[6:7]
                                        ; implicit-def: $sgpr37
	s_cbranch_vccz .LBB9_52
; %bb.21:                               ;   in Loop: Header=BB9_3 Depth=1
	v_cmp_nlt_f64_e32 vcc, s[18:19], v[4:5]
	s_cbranch_vccz .LBB9_27
; %bb.22:                               ;   in Loop: Header=BB9_3 Depth=1
	v_cmp_gt_f64_e32 vcc, s[22:23], v[4:5]
	s_mov_b64 s[6:7], -1
	s_cbranch_vccz .LBB9_28
; %bb.23:                               ;   in Loop: Header=BB9_3 Depth=1
	v_div_scale_f64 v[8:9], s[6:7], s[22:23], s[22:23], v[4:5]
	v_rcp_f64_e32 v[10:11], v[8:9]
	v_div_scale_f64 v[12:13], vcc, v[4:5], s[22:23], v[4:5]
	s_mov_b64 s[6:7], 0
	v_fma_f64 v[14:15], -v[8:9], v[10:11], 1.0
	v_fmac_f64_e32 v[10:11], v[10:11], v[14:15]
	v_fma_f64 v[14:15], -v[8:9], v[10:11], 1.0
	v_fmac_f64_e32 v[10:11], v[10:11], v[14:15]
	v_mul_f64 v[14:15], v[12:13], v[10:11]
	v_fma_f64 v[8:9], -v[8:9], v[14:15], v[12:13]
	v_div_fmas_f64 v[8:9], v[8:9], v[10:11], v[14:15]
	v_div_fixup_f64 v[8:9], v[8:9], s[22:23], v[4:5]
	s_waitcnt vmcnt(0)
	v_mul_f64 v[10:11], v[6:7], v[8:9]
	s_and_b64 vcc, exec, s[4:5]
	global_store_dwordx2 v2, v[10:11], s[34:35]
	s_cbranch_vccz .LBB9_28
; %bb.24:                               ;   in Loop: Header=BB9_3 Depth=1
	s_add_u32 s6, s66, s30
	s_addc_u32 s7, s67, s31
	s_add_u32 s8, s62, s30
	s_addc_u32 s9, s63, s31
	s_mov_b32 s29, s26
.LBB9_25:                               ;   Parent Loop BB9_3 Depth=1
                                        ; =>  This Inner Loop Header: Depth=2
	global_load_dwordx2 v[10:11], v2, s[6:7]
	s_add_i32 s29, s29, 1
	s_waitcnt vmcnt(0)
	v_mul_f64 v[10:11], v[8:9], v[10:11]
	global_store_dwordx2 v2, v[10:11], s[6:7]
	global_load_dwordx2 v[10:11], v2, s[8:9]
	s_add_u32 s6, s6, 8
	s_addc_u32 s7, s7, 0
	s_waitcnt vmcnt(0)
	v_mul_f64 v[10:11], v[8:9], v[10:11]
	global_store_dwordx2 v2, v[10:11], s[8:9]
	s_add_u32 s8, s8, 8
	s_addc_u32 s9, s9, 0
	s_cmp_lt_i32 s29, s28
	s_cbranch_scc1 .LBB9_25
; %bb.26:                               ;   in Loop: Header=BB9_3 Depth=1
	s_mov_b64 s[6:7], -1
	s_branch .LBB9_33
.LBB9_27:                               ;   in Loop: Header=BB9_3 Depth=1
	s_mov_b64 s[6:7], 0
	s_and_b64 vcc, exec, s[8:9]
	s_cbranch_vccnz .LBB9_29
	s_branch .LBB9_33
.LBB9_28:                               ;   in Loop: Header=BB9_3 Depth=1
	s_branch .LBB9_33
.LBB9_29:                               ;   in Loop: Header=BB9_3 Depth=1
	v_div_scale_f64 v[8:9], s[8:9], s[18:19], s[18:19], v[4:5]
	v_rcp_f64_e32 v[10:11], v[8:9]
	v_div_scale_f64 v[12:13], vcc, v[4:5], s[18:19], v[4:5]
	v_fma_f64 v[14:15], -v[8:9], v[10:11], 1.0
	v_fmac_f64_e32 v[10:11], v[10:11], v[14:15]
	v_fma_f64 v[14:15], -v[8:9], v[10:11], 1.0
	v_fmac_f64_e32 v[10:11], v[10:11], v[14:15]
	v_mul_f64 v[14:15], v[12:13], v[10:11]
	v_fma_f64 v[8:9], -v[8:9], v[14:15], v[12:13]
	v_div_fmas_f64 v[8:9], v[8:9], v[10:11], v[14:15]
	v_div_fixup_f64 v[8:9], v[8:9], s[18:19], v[4:5]
	s_waitcnt vmcnt(0)
	v_mul_f64 v[6:7], v[6:7], v[8:9]
	s_and_b64 vcc, exec, s[4:5]
	global_store_dwordx2 v2, v[6:7], s[34:35]
	s_cbranch_vccz .LBB9_33
; %bb.30:                               ;   in Loop: Header=BB9_3 Depth=1
	s_add_u32 s6, s66, s30
	s_addc_u32 s7, s67, s31
	s_add_u32 s8, s62, s30
	s_addc_u32 s9, s63, s31
	s_mov_b32 s29, s26
.LBB9_31:                               ;   Parent Loop BB9_3 Depth=1
                                        ; =>  This Inner Loop Header: Depth=2
	global_load_dwordx2 v[6:7], v2, s[6:7]
	s_add_i32 s29, s29, 1
	s_waitcnt vmcnt(0)
	v_mul_f64 v[6:7], v[8:9], v[6:7]
	global_store_dwordx2 v2, v[6:7], s[6:7]
	global_load_dwordx2 v[6:7], v2, s[8:9]
	s_add_u32 s6, s6, 8
	s_addc_u32 s7, s7, 0
	s_waitcnt vmcnt(0)
	v_mul_f64 v[6:7], v[8:9], v[6:7]
	global_store_dwordx2 v2, v[6:7], s[8:9]
	s_add_u32 s8, s8, 8
	s_addc_u32 s9, s9, 0
	s_cmp_ge_i32 s29, s28
	s_cbranch_scc0 .LBB9_31
; %bb.32:                               ;   in Loop: Header=BB9_3 Depth=1
	s_mov_b64 s[6:7], -1
.LBB9_33:                               ;   in Loop: Header=BB9_3 Depth=1
	s_waitcnt vmcnt(0)
	v_cndmask_b32_e64 v6, 0, 1, s[4:5]
	s_and_b64 vcc, exec, s[6:7]
	v_cmp_ne_u32_e64 s[4:5], 1, v6
	s_cbranch_vccz .LBB9_37
; %bb.34:                               ;   in Loop: Header=BB9_3 Depth=1
	s_and_b64 vcc, exec, s[4:5]
	s_cbranch_vccnz .LBB9_37
; %bb.35:                               ;   in Loop: Header=BB9_3 Depth=1
	s_add_u32 s6, s62, s30
	s_addc_u32 s7, s63, s31
	s_mov_b32 s8, s26
.LBB9_36:                               ;   Parent Loop BB9_3 Depth=1
                                        ; =>  This Inner Loop Header: Depth=2
	global_load_dwordx2 v[6:7], v2, s[6:7]
	s_add_i32 s8, s8, 1
	s_waitcnt vmcnt(0)
	v_mul_f64 v[6:7], v[6:7], v[6:7]
	global_store_dwordx2 v2, v[6:7], s[6:7]
	s_add_u32 s6, s6, 8
	s_addc_u32 s7, s7, 0
	s_cmp_lt_i32 s8, s28
	s_cbranch_scc1 .LBB9_36
.LBB9_37:                               ;   in Loop: Header=BB9_3 Depth=1
	s_add_u32 s6, s58, s30
	s_addc_u32 s7, s59, s31
	global_load_dwordx2 v[6:7], v2, s[34:35]
	global_load_dwordx2 v[8:9], v2, s[6:7]
	s_mov_b64 s[8:9], -1
                                        ; implicit-def: $sgpr37
	s_waitcnt vmcnt(0)
	v_cmp_lt_f64_e64 s[6:7], |v[6:7]|, |v[8:9]|
	s_and_b64 s[6:7], s[6:7], exec
	s_cselect_b32 s29, s26, s28
	s_cselect_b32 s36, s28, s26
	s_cmp_lt_i32 s73, s60
	s_cselect_b64 s[6:7], -1, 0
	v_cndmask_b32_e64 v6, 0, 1, s[6:7]
	s_cmp_lt_i32 s29, s36
	v_cmp_ne_u32_e64 s[6:7], 1, v6
	s_cbranch_scc0 .LBB9_40
; %bb.38:                               ;   in Loop: Header=BB9_3 Depth=1
	s_andn2_b64 vcc, exec, s[8:9]
	s_cbranch_vccz .LBB9_42
.LBB9_39:                               ;   in Loop: Header=BB9_3 Depth=1
	v_cmp_lt_f64_e32 vcc, s[18:19], v[4:5]
	s_andn2_b64 vcc, exec, vcc
	s_cbranch_vccz .LBB9_44
	s_branch .LBB9_47
.LBB9_40:                               ;   in Loop: Header=BB9_3 Depth=1
	s_and_b64 vcc, exec, s[6:7]
	s_mov_b32 s37, s73
	s_mov_b32 s38, s36
	s_cbranch_vccz .LBB9_54
.LBB9_41:                               ;   in Loop: Header=BB9_3 Depth=1
	s_cbranch_execnz .LBB9_39
.LBB9_42:                               ;   in Loop: Header=BB9_3 Depth=1
	s_and_b64 vcc, exec, s[6:7]
	s_cbranch_vccz .LBB9_102
.LBB9_43:                               ;   in Loop: Header=BB9_3 Depth=1
	s_mov_b32 s37, s73
	v_cmp_lt_f64_e32 vcc, s[18:19], v[4:5]
	s_andn2_b64 vcc, exec, vcc
	s_cbranch_vccnz .LBB9_47
.LBB9_44:                               ;   in Loop: Header=BB9_3 Depth=1
	global_load_dwordx2 v[8:9], v2, s[34:35]
	s_waitcnt vmcnt(1)
	v_div_scale_f64 v[6:7], s[6:7], v[4:5], v[4:5], s[18:19]
	v_rcp_f64_e32 v[10:11], v[6:7]
	v_div_scale_f64 v[12:13], vcc, s[18:19], v[4:5], s[18:19]
	v_fma_f64 v[14:15], -v[6:7], v[10:11], 1.0
	v_fmac_f64_e32 v[10:11], v[10:11], v[14:15]
	v_fma_f64 v[14:15], -v[6:7], v[10:11], 1.0
	v_fmac_f64_e32 v[10:11], v[10:11], v[14:15]
	v_mul_f64 v[14:15], v[12:13], v[10:11]
	v_fma_f64 v[6:7], -v[6:7], v[14:15], v[12:13]
	v_div_fmas_f64 v[6:7], v[6:7], v[10:11], v[14:15]
	v_div_fixup_f64 v[6:7], v[6:7], v[4:5], s[18:19]
	s_and_b64 vcc, exec, s[4:5]
	s_waitcnt vmcnt(0)
	v_mul_f64 v[8:9], v[6:7], v[8:9]
	global_store_dwordx2 v2, v[8:9], s[34:35]
	s_cbranch_vccnz .LBB9_47
; %bb.45:                               ;   in Loop: Header=BB9_3 Depth=1
	s_add_u32 s6, s66, s30
	s_addc_u32 s7, s67, s31
	s_add_u32 s8, s62, s30
	s_addc_u32 s9, s63, s31
	s_mov_b32 s29, s26
.LBB9_46:                               ;   Parent Loop BB9_3 Depth=1
                                        ; =>  This Inner Loop Header: Depth=2
	global_load_dwordx2 v[8:9], v2, s[6:7]
	s_add_i32 s29, s29, 1
	s_waitcnt vmcnt(0)
	v_mul_f64 v[8:9], v[6:7], v[8:9]
	global_store_dwordx2 v2, v[8:9], s[6:7]
	global_load_dwordx2 v[8:9], v2, s[8:9]
	s_add_u32 s6, s6, 8
	s_addc_u32 s7, s7, 0
	s_waitcnt vmcnt(0)
	v_mul_f64 v[8:9], v[6:7], v[8:9]
	global_store_dwordx2 v2, v[8:9], s[8:9]
	s_add_u32 s8, s8, 8
	s_addc_u32 s9, s9, 0
	s_cmp_lt_i32 s29, s28
	s_cbranch_scc1 .LBB9_46
.LBB9_47:                               ;   in Loop: Header=BB9_3 Depth=1
	v_cmp_ngt_f64_e32 vcc, s[22:23], v[4:5]
	s_cbranch_vccnz .LBB9_51
; %bb.48:                               ;   in Loop: Header=BB9_3 Depth=1
	global_load_dwordx2 v[6:7], v2, s[34:35]
	v_div_scale_f64 v[8:9], s[6:7], v[4:5], v[4:5], s[22:23]
	v_rcp_f64_e32 v[10:11], v[8:9]
	v_div_scale_f64 v[12:13], vcc, s[22:23], v[4:5], s[22:23]
	v_fma_f64 v[14:15], -v[8:9], v[10:11], 1.0
	v_fmac_f64_e32 v[10:11], v[10:11], v[14:15]
	v_fma_f64 v[14:15], -v[8:9], v[10:11], 1.0
	v_fmac_f64_e32 v[10:11], v[10:11], v[14:15]
	v_mul_f64 v[14:15], v[12:13], v[10:11]
	v_fma_f64 v[8:9], -v[8:9], v[14:15], v[12:13]
	v_div_fmas_f64 v[8:9], v[8:9], v[10:11], v[14:15]
	v_div_fixup_f64 v[4:5], v[8:9], v[4:5], s[22:23]
	s_and_b64 vcc, exec, s[4:5]
	s_waitcnt vmcnt(0)
	v_mul_f64 v[6:7], v[4:5], v[6:7]
	global_store_dwordx2 v2, v[6:7], s[34:35]
	s_cbranch_vccnz .LBB9_51
; %bb.49:                               ;   in Loop: Header=BB9_3 Depth=1
	s_add_u32 s4, s66, s30
	s_addc_u32 s5, s67, s31
	s_add_u32 s6, s62, s30
	s_addc_u32 s7, s63, s31
.LBB9_50:                               ;   Parent Loop BB9_3 Depth=1
                                        ; =>  This Inner Loop Header: Depth=2
	global_load_dwordx2 v[6:7], v2, s[4:5]
	s_add_i32 s26, s26, 1
	s_waitcnt vmcnt(0)
	v_mul_f64 v[6:7], v[4:5], v[6:7]
	global_store_dwordx2 v2, v[6:7], s[4:5]
	global_load_dwordx2 v[6:7], v2, s[6:7]
	s_add_u32 s4, s4, 8
	s_addc_u32 s5, s5, 0
	s_waitcnt vmcnt(0)
	v_mul_f64 v[6:7], v[4:5], v[6:7]
	global_store_dwordx2 v2, v[6:7], s[6:7]
	s_add_u32 s6, s6, 8
	s_addc_u32 s7, s7, 0
	s_cmp_lt_i32 s26, s28
	s_cbranch_scc1 .LBB9_50
.LBB9_51:                               ;   in Loop: Header=BB9_3 Depth=1
	s_cmp_ge_i32 s37, s60
	s_cselect_b64 s[4:5], -1, 0
	s_cmp_ge_i32 s27, s33
	s_cselect_b64 s[6:7], -1, 0
	s_or_b64 s[8:9], s[6:7], s[4:5]
.LBB9_52:                               ;   in Loop: Header=BB9_3 Depth=1
	s_and_b64 vcc, exec, s[8:9]
	s_mov_b32 s73, s37
	s_cbranch_vccz .LBB9_3
	s_branch .LBB9_148
.LBB9_53:                               ;   in Loop: Header=BB9_54 Depth=2
	s_andn2_b64 vcc, exec, s[40:41]
	s_cbranch_vccz .LBB9_41
.LBB9_54:                               ;   Parent Loop BB9_3 Depth=1
                                        ; =>  This Loop Header: Depth=2
                                        ;       Child Loop BB9_56 Depth 3
                                        ;       Child Loop BB9_68 Depth 3
	s_ashr_i32 s39, s38, 31
	s_max_i32 s44, s29, s38
	s_lshl_b64 s[46:47], s[38:39], 3
	s_add_u32 s8, s64, s46
	s_addc_u32 s9, s65, s47
	s_add_u32 s40, s68, s46
	s_addc_u32 s41, s69, s47
	s_mov_b32 s39, s38
	s_mov_b64 s[42:43], -1
	s_cmp_ge_i32 s39, s29
	s_mov_b64 s[48:49], -1
                                        ; implicit-def: $sgpr45
	s_cbranch_scc1 .LBB9_56
.LBB9_55:                               ;   in Loop: Header=BB9_54 Depth=2
	global_load_dwordx4 v[6:9], v2, s[40:41] offset:-8
	global_load_dwordx2 v[10:11], v2, s[8:9] offset:8
	s_add_u32 s8, s8, 8
	s_addc_u32 s9, s9, 0
	s_add_i32 s45, s39, 1
	s_add_u32 s40, s40, 8
	s_mov_b64 s[42:43], 0
	s_addc_u32 s41, s41, 0
	s_waitcnt vmcnt(1)
	v_mul_f64 v[6:7], v[6:7], v[8:9]
	v_mul_f64 v[6:7], v[0:1], |v[6:7]|
	s_waitcnt vmcnt(0)
	v_cmp_le_f64_e64 s[48:49], |v[10:11]|, v[6:7]
.LBB9_56:                               ;   Parent Loop BB9_3 Depth=1
                                        ;     Parent Loop BB9_54 Depth=2
                                        ; =>    This Inner Loop Header: Depth=3
	s_andn2_b64 vcc, exec, s[48:49]
	s_cbranch_vccz .LBB9_58
; %bb.57:                               ;   in Loop: Header=BB9_56 Depth=3
	s_mov_b32 s39, s45
	s_mov_b64 s[42:43], -1
	s_cmp_ge_i32 s39, s29
	s_mov_b64 s[48:49], -1
                                        ; implicit-def: $sgpr45
	s_cbranch_scc0 .LBB9_55
	s_branch .LBB9_56
.LBB9_58:                               ;   in Loop: Header=BB9_54 Depth=2
	s_andn2_b64 vcc, exec, s[42:43]
	s_cbranch_vccz .LBB9_60
; %bb.59:                               ;   in Loop: Header=BB9_54 Depth=2
	s_mov_b32 s44, s39
	global_store_dwordx2 v2, v[2:3], s[8:9]
.LBB9_60:                               ;   in Loop: Header=BB9_54 Depth=2
	s_add_i32 s8, s38, 1
	s_cmp_eq_u32 s44, s38
	s_mov_b64 s[40:41], -1
	s_cbranch_scc1 .LBB9_76
; %bb.61:                               ;   in Loop: Header=BB9_54 Depth=2
	s_add_u32 s42, s58, s46
	s_addc_u32 s43, s59, s47
	global_load_dwordx2 v[6:7], v2, s[42:43]
	s_cmp_lg_u32 s44, s8
	s_cbranch_scc0 .LBB9_77
; %bb.62:                               ;   in Loop: Header=BB9_54 Depth=2
	s_mov_b64 s[48:49], 0
	s_cmp_lg_u32 s37, s60
	s_mov_b32 s39, s60
	s_mov_b64 s[8:9], 0
	s_cbranch_scc0 .LBB9_78
; %bb.63:                               ;   in Loop: Header=BB9_54 Depth=2
	s_add_u32 s50, s14, s46
	s_addc_u32 s51, s15, s47
	global_load_dwordx2 v[8:9], v2, s[50:51]
	global_load_dwordx2 v[10:11], v2, s[42:43] offset:8
	s_waitcnt vmcnt(1)
	v_cmp_gt_f64_e32 vcc, s[16:17], v[8:9]
	s_and_b64 s[8:9], vcc, exec
	s_cselect_b32 s8, 0x100, 0
	v_ldexp_f64 v[8:9], v[8:9], s8
	v_rsq_f64_e32 v[12:13], v[8:9]
	s_cselect_b32 s8, 0xffffff80, 0
	v_cmp_class_f64_e32 vcc, v[8:9], v24
	s_waitcnt vmcnt(0)
	v_add_f64 v[10:11], v[10:11], -v[6:7]
	v_mul_f64 v[14:15], v[8:9], v[12:13]
	v_mul_f64 v[12:13], v[12:13], 0.5
	v_fma_f64 v[16:17], -v[12:13], v[14:15], 0.5
	v_fmac_f64_e32 v[14:15], v[14:15], v[16:17]
	v_fmac_f64_e32 v[12:13], v[12:13], v[16:17]
	v_fma_f64 v[16:17], -v[14:15], v[14:15], v[8:9]
	v_fmac_f64_e32 v[14:15], v[16:17], v[12:13]
	v_fma_f64 v[16:17], -v[14:15], v[14:15], v[8:9]
	v_fmac_f64_e32 v[14:15], v[16:17], v[12:13]
	v_ldexp_f64 v[12:13], v[14:15], s8
	v_cndmask_b32_e32 v9, v13, v9, vcc
	v_cndmask_b32_e32 v8, v12, v8, vcc
	v_add_f64 v[12:13], v[8:9], v[8:9]
	v_div_scale_f64 v[14:15], s[8:9], v[12:13], v[12:13], v[10:11]
	v_rcp_f64_e32 v[16:17], v[14:15]
	v_div_scale_f64 v[18:19], vcc, v[10:11], v[12:13], v[10:11]
	v_fma_f64 v[20:21], -v[14:15], v[16:17], 1.0
	v_fmac_f64_e32 v[16:17], v[16:17], v[20:21]
	v_fma_f64 v[20:21], -v[14:15], v[16:17], 1.0
	v_fmac_f64_e32 v[16:17], v[16:17], v[20:21]
	v_mul_f64 v[20:21], v[18:19], v[16:17]
	v_fma_f64 v[14:15], -v[14:15], v[20:21], v[18:19]
	v_div_fmas_f64 v[14:15], v[14:15], v[16:17], v[20:21]
	v_div_fixup_f64 v[10:11], v[14:15], v[12:13], v[10:11]
	v_fma_f64 v[12:13], v[10:11], v[10:11], 1.0
	v_cmp_gt_f64_e32 vcc, s[16:17], v[12:13]
	s_and_b64 s[8:9], vcc, exec
	s_cselect_b32 s39, 0x100, 0
	s_cselect_b32 s54, 0xffffff80, 0
	s_ashr_i32 s45, s44, 31
	s_lshl_b64 s[8:9], s[44:45], 3
	s_add_u32 s52, s58, s8
	s_addc_u32 s53, s59, s9
	global_load_dwordx2 v[14:15], v2, s[52:53]
	v_ldexp_f64 v[12:13], v[12:13], s39
	v_rsq_f64_e32 v[16:17], v[12:13]
	v_cmp_class_f64_e32 vcc, v[12:13], v24
	s_cmp_le_i32 s44, s38
	v_mul_f64 v[18:19], v[12:13], v[16:17]
	v_mul_f64 v[16:17], v[16:17], 0.5
	v_fma_f64 v[20:21], -v[16:17], v[18:19], 0.5
	v_fmac_f64_e32 v[18:19], v[18:19], v[20:21]
	v_fmac_f64_e32 v[16:17], v[16:17], v[20:21]
	v_fma_f64 v[20:21], -v[18:19], v[18:19], v[12:13]
	v_fmac_f64_e32 v[18:19], v[20:21], v[16:17]
	v_fma_f64 v[20:21], -v[18:19], v[18:19], v[12:13]
	v_fmac_f64_e32 v[18:19], v[20:21], v[16:17]
	v_ldexp_f64 v[16:17], v[18:19], s54
	v_cndmask_b32_e32 v13, v17, v13, vcc
	v_cndmask_b32_e32 v12, v16, v12, vcc
	v_and_b32_e32 v16, 0x7fffffff, v13
	v_or_b32_e32 v13, 0x80000000, v13
	v_cmp_nle_f64_e32 vcc, 0, v[10:11]
	s_nop 1
	v_cndmask_b32_e32 v13, v16, v13, vcc
	v_add_f64 v[10:11], v[10:11], v[12:13]
	v_div_scale_f64 v[12:13], s[54:55], v[10:11], v[10:11], v[8:9]
	v_rcp_f64_e32 v[16:17], v[12:13]
	v_div_scale_f64 v[18:19], vcc, v[8:9], v[10:11], v[8:9]
	v_fma_f64 v[20:21], -v[12:13], v[16:17], 1.0
	v_fmac_f64_e32 v[16:17], v[16:17], v[20:21]
	v_fma_f64 v[20:21], -v[12:13], v[16:17], 1.0
	v_fmac_f64_e32 v[16:17], v[16:17], v[20:21]
	v_mul_f64 v[20:21], v[18:19], v[16:17]
	v_fma_f64 v[12:13], -v[12:13], v[20:21], v[18:19]
	v_div_fmas_f64 v[12:13], v[12:13], v[16:17], v[20:21]
	v_div_fixup_f64 v[8:9], v[12:13], v[10:11], v[8:9]
	v_add_f64 v[8:9], v[6:7], -v[8:9]
	v_mov_b64_e32 v[12:13], 0
	s_waitcnt vmcnt(0)
	v_add_f64 v[14:15], v[14:15], -v[8:9]
	v_mul_f64 v[16:17], v[14:15], v[14:15]
	s_cbranch_scc1 .LBB9_98
; %bb.64:                               ;   in Loop: Header=BB9_54 Depth=2
	s_add_u32 s8, s14, s8
	s_addc_u32 s9, s15, s9
	global_load_dwordx2 v[10:11], v2, s[8:9] offset:-8
	global_load_dwordx2 v[20:21], v2, s[52:53] offset:-8
	s_waitcnt vmcnt(1)
	v_add_f64 v[12:13], v[16:17], v[10:11]
	v_div_scale_f64 v[22:23], s[8:9], v[12:13], v[12:13], v[16:17]
	v_div_scale_f64 v[28:29], s[8:9], v[12:13], v[12:13], v[10:11]
	v_rcp_f64_e32 v[30:31], v[22:23]
	v_rcp_f64_e32 v[32:33], v[28:29]
	v_div_scale_f64 v[26:27], vcc, v[16:17], v[12:13], v[16:17]
	v_fma_f64 v[36:37], -v[22:23], v[30:31], 1.0
	v_fma_f64 v[38:39], -v[28:29], v[32:33], 1.0
	v_fmac_f64_e32 v[30:31], v[30:31], v[36:37]
	v_fmac_f64_e32 v[32:33], v[32:33], v[38:39]
	v_fma_f64 v[36:37], -v[22:23], v[30:31], 1.0
	v_fma_f64 v[38:39], -v[28:29], v[32:33], 1.0
	v_fmac_f64_e32 v[30:31], v[30:31], v[36:37]
	v_div_scale_f64 v[34:35], s[8:9], v[10:11], v[12:13], v[10:11]
	v_fmac_f64_e32 v[32:33], v[32:33], v[38:39]
	v_mul_f64 v[36:37], v[26:27], v[30:31]
	v_mul_f64 v[38:39], v[34:35], v[32:33]
	v_fma_f64 v[22:23], -v[22:23], v[36:37], v[26:27]
	v_fma_f64 v[26:27], -v[28:29], v[38:39], v[34:35]
	v_div_fmas_f64 v[22:23], v[22:23], v[30:31], v[36:37]
	s_mov_b64 vcc, s[8:9]
	v_div_fixup_f64 v[16:17], v[22:23], v[12:13], v[16:17]
	v_div_fmas_f64 v[22:23], v[26:27], v[32:33], v[38:39]
	v_div_fixup_f64 v[12:13], v[22:23], v[12:13], v[10:11]
	s_waitcnt vmcnt(0)
	v_add_f64 v[18:19], v[20:21], -v[8:9]
	v_mul_f64 v[22:23], v[14:15], v[12:13]
	v_fma_f64 v[18:19], v[16:17], v[18:19], -v[22:23]
	v_cmp_eq_f64_e32 vcc, 0, v[16:17]
	v_add_f64 v[20:21], v[20:21], -v[18:19]
	v_add_f64 v[14:15], v[14:15], v[20:21]
	global_store_dwordx2 v2, v[14:15], s[52:53]
	s_cbranch_vccnz .LBB9_66
; %bb.65:                               ;   in Loop: Header=BB9_54 Depth=2
	v_mul_f64 v[10:11], v[18:19], v[18:19]
	v_div_scale_f64 v[14:15], s[8:9], v[16:17], v[16:17], v[10:11]
	v_rcp_f64_e32 v[20:21], v[14:15]
	v_div_scale_f64 v[22:23], vcc, v[10:11], v[16:17], v[10:11]
	v_fma_f64 v[26:27], -v[14:15], v[20:21], 1.0
	v_fmac_f64_e32 v[20:21], v[20:21], v[26:27]
	v_fma_f64 v[26:27], -v[14:15], v[20:21], 1.0
	v_fmac_f64_e32 v[20:21], v[20:21], v[26:27]
	v_mul_f64 v[26:27], v[22:23], v[20:21]
	v_fma_f64 v[14:15], -v[14:15], v[26:27], v[22:23]
	v_div_fmas_f64 v[14:15], v[14:15], v[20:21], v[26:27]
	v_div_fixup_f64 v[10:11], v[14:15], v[16:17], v[10:11]
.LBB9_66:                               ;   in Loop: Header=BB9_54 Depth=2
	s_add_i32 s8, s44, -1
	s_cmp_le_i32 s8, s38
	s_cbranch_scc1 .LBB9_96
; %bb.67:                               ;   in Loop: Header=BB9_54 Depth=2
	s_add_i32 s8, s44, -2
	s_ashr_i32 s9, s8, 31
	s_lshl_b64 s[8:9], s[8:9], 3
	s_add_u32 s54, s68, s8
	s_addc_u32 s55, s69, s9
	s_add_u32 s8, s70, s8
	s_addc_u32 s9, s71, s9
	s_mov_b32 s39, -1
.LBB9_68:                               ;   Parent Loop BB9_3 Depth=1
                                        ;     Parent Loop BB9_54 Depth=2
                                        ; =>    This Inner Loop Header: Depth=3
	global_load_dwordx2 v[20:21], v2, s[8:9] offset:-8
	s_add_u32 s52, s8, -8
	s_addc_u32 s53, s9, -1
	s_cmp_eq_u32 s39, 0
	s_waitcnt vmcnt(0)
	v_add_f64 v[14:15], v[10:11], v[20:21]
	s_cbranch_scc1 .LBB9_70
; %bb.69:                               ;   in Loop: Header=BB9_68 Depth=3
	v_mul_f64 v[12:13], v[12:13], v[14:15]
	global_store_dwordx2 v2, v[12:13], s[8:9]
.LBB9_70:                               ;   in Loop: Header=BB9_68 Depth=3
	global_load_dwordx2 v[26:27], v2, s[54:55] offset:-8
	v_div_scale_f64 v[12:13], s[8:9], v[14:15], v[14:15], v[10:11]
	v_div_scale_f64 v[28:29], s[8:9], v[14:15], v[14:15], v[20:21]
	v_rcp_f64_e32 v[32:33], v[12:13]
	v_rcp_f64_e32 v[34:35], v[28:29]
	v_div_scale_f64 v[22:23], vcc, v[10:11], v[14:15], v[10:11]
	v_fma_f64 v[36:37], -v[12:13], v[32:33], 1.0
	v_fma_f64 v[38:39], -v[28:29], v[34:35], 1.0
	v_fmac_f64_e32 v[32:33], v[32:33], v[36:37]
	v_fmac_f64_e32 v[34:35], v[34:35], v[38:39]
	v_fma_f64 v[36:37], -v[12:13], v[32:33], 1.0
	v_fma_f64 v[38:39], -v[28:29], v[34:35], 1.0
	v_fmac_f64_e32 v[32:33], v[32:33], v[36:37]
	v_div_scale_f64 v[30:31], s[8:9], v[20:21], v[14:15], v[20:21]
	v_fmac_f64_e32 v[34:35], v[34:35], v[38:39]
	v_mul_f64 v[36:37], v[22:23], v[32:33]
	v_mul_f64 v[38:39], v[30:31], v[34:35]
	v_fma_f64 v[12:13], -v[12:13], v[36:37], v[22:23]
	v_fma_f64 v[28:29], -v[28:29], v[38:39], v[30:31]
	v_div_fmas_f64 v[12:13], v[12:13], v[32:33], v[36:37]
	s_mov_b64 vcc, s[8:9]
	v_div_fixup_f64 v[22:23], v[12:13], v[14:15], v[10:11]
	v_div_fmas_f64 v[10:11], v[28:29], v[34:35], v[38:39]
	v_div_fixup_f64 v[12:13], v[10:11], v[14:15], v[20:21]
	v_mul_f64 v[10:11], v[18:19], v[12:13]
	s_add_u32 s56, s54, -8
	v_cmp_eq_f64_e32 vcc, 0, v[22:23]
	s_addc_u32 s57, s55, -1
	s_and_b64 vcc, exec, vcc
	s_waitcnt vmcnt(0)
	v_add_f64 v[14:15], v[26:27], -v[8:9]
	v_fma_f64 v[14:15], v[22:23], v[14:15], -v[10:11]
	v_add_f64 v[10:11], v[26:27], -v[14:15]
	v_add_f64 v[10:11], v[18:19], v[10:11]
	global_store_dwordx2 v2, v[10:11], s[54:55]
	s_cbranch_vccz .LBB9_75
; %bb.71:                               ;   in Loop: Header=BB9_68 Depth=3
	v_mul_f64 v[10:11], v[16:17], v[20:21]
	s_cbranch_execnz .LBB9_73
.LBB9_72:                               ;   in Loop: Header=BB9_68 Depth=3
	v_mul_f64 v[10:11], v[14:15], v[14:15]
	v_div_scale_f64 v[16:17], s[8:9], v[22:23], v[22:23], v[10:11]
	v_rcp_f64_e32 v[18:19], v[16:17]
	v_div_scale_f64 v[20:21], vcc, v[10:11], v[22:23], v[10:11]
	v_fma_f64 v[26:27], -v[16:17], v[18:19], 1.0
	v_fmac_f64_e32 v[18:19], v[18:19], v[26:27]
	v_fma_f64 v[26:27], -v[16:17], v[18:19], 1.0
	v_fmac_f64_e32 v[18:19], v[18:19], v[26:27]
	v_mul_f64 v[26:27], v[20:21], v[18:19]
	v_fma_f64 v[16:17], -v[16:17], v[26:27], v[20:21]
	v_div_fmas_f64 v[16:17], v[16:17], v[18:19], v[26:27]
	v_div_fixup_f64 v[10:11], v[16:17], v[22:23], v[10:11]
.LBB9_73:                               ;   in Loop: Header=BB9_68 Depth=3
	s_add_i32 s39, s39, -1
	s_add_i32 s8, s44, s39
	s_cmp_le_i32 s8, s38
	s_cbranch_scc1 .LBB9_97
; %bb.74:                               ;   in Loop: Header=BB9_68 Depth=3
	s_mov_b64 s[8:9], s[52:53]
	s_mov_b64 s[54:55], s[56:57]
	v_mov_b64_e32 v[16:17], v[22:23]
	v_mov_b64_e32 v[18:19], v[14:15]
	s_branch .LBB9_68
.LBB9_75:                               ;   in Loop: Header=BB9_68 Depth=3
                                        ; implicit-def: $vgpr10_vgpr11
	s_branch .LBB9_72
.LBB9_76:                               ;   in Loop: Header=BB9_54 Depth=2
	s_mov_b32 s38, s8
	s_cbranch_execz .LBB9_53
	s_branch .LBB9_100
.LBB9_77:                               ;   in Loop: Header=BB9_54 Depth=2
	s_mov_b64 s[48:49], -1
	s_mov_b64 s[8:9], 0
                                        ; implicit-def: $sgpr39
.LBB9_78:                               ;   in Loop: Header=BB9_54 Depth=2
	s_and_b64 vcc, exec, s[48:49]
	s_cbranch_vccz .LBB9_99
.LBB9_79:                               ;   in Loop: Header=BB9_54 Depth=2
	s_add_u32 s8, s14, s46
	s_addc_u32 s9, s15, s47
	global_load_dwordx2 v[8:9], v2, s[8:9]
	s_waitcnt vmcnt(0)
	v_cmp_gt_f64_e32 vcc, s[16:17], v[8:9]
	s_and_b64 s[46:47], vcc, exec
	s_cselect_b32 s39, 0x100, 0
	s_cselect_b32 s46, 0xffffff80, 0
	s_ashr_i32 s45, s44, 31
	s_lshl_b64 s[44:45], s[44:45], 3
	s_add_u32 s44, s58, s44
	s_addc_u32 s45, s59, s45
	global_load_dwordx2 v[10:11], v2, s[44:45]
	v_ldexp_f64 v[8:9], v[8:9], s39
	v_rsq_f64_e32 v[12:13], v[8:9]
	v_cmp_class_f64_e32 vcc, v[8:9], v24
	v_mul_f64 v[14:15], v[8:9], v[12:13]
	v_mul_f64 v[12:13], v[12:13], 0.5
	v_fma_f64 v[16:17], -v[12:13], v[14:15], 0.5
	v_fmac_f64_e32 v[14:15], v[14:15], v[16:17]
	v_fmac_f64_e32 v[12:13], v[12:13], v[16:17]
	v_fma_f64 v[16:17], -v[14:15], v[14:15], v[8:9]
	v_fmac_f64_e32 v[14:15], v[16:17], v[12:13]
	v_fma_f64 v[16:17], -v[14:15], v[14:15], v[8:9]
	v_fmac_f64_e32 v[14:15], v[16:17], v[12:13]
	v_ldexp_f64 v[12:13], v[14:15], s46
	v_cndmask_b32_e32 v9, v13, v9, vcc
	v_cndmask_b32_e32 v8, v12, v8, vcc
	v_add_f64 v[16:17], v[8:9], v[8:9]
	s_waitcnt vmcnt(0)
	v_add_f64 v[14:15], v[6:7], -v[10:11]
	v_cmp_ngt_f64_e64 s[46:47], |v[14:15]|, |v[16:17]|
	s_and_b64 vcc, exec, s[46:47]
	s_cbranch_vccz .LBB9_82
; %bb.80:                               ;   in Loop: Header=BB9_54 Depth=2
	v_cmp_nlt_f64_e64 s[46:47], |v[14:15]|, |v[16:17]|
	s_and_b64 vcc, exec, s[46:47]
	s_cbranch_vccz .LBB9_83
; %bb.81:                               ;   in Loop: Header=BB9_54 Depth=2
	v_mul_f64 v[12:13], |v[16:17]|, s[24:25]
	s_cbranch_execz .LBB9_84
	s_branch .LBB9_85
.LBB9_82:                               ;   in Loop: Header=BB9_54 Depth=2
                                        ; implicit-def: $vgpr12_vgpr13
	s_branch .LBB9_86
.LBB9_83:                               ;   in Loop: Header=BB9_54 Depth=2
                                        ; implicit-def: $vgpr12_vgpr13
.LBB9_84:                               ;   in Loop: Header=BB9_54 Depth=2
	v_and_b32_e32 v13, 0x7fffffff, v15
	v_mov_b32_e32 v12, v14
	v_and_b32_e32 v19, 0x7fffffff, v17
	v_mov_b32_e32 v18, v16
	v_div_scale_f64 v[20:21], s[46:47], v[18:19], v[18:19], v[12:13]
	v_rcp_f64_e32 v[22:23], v[20:21]
	v_div_scale_f64 v[12:13], vcc, v[12:13], v[18:19], v[12:13]
	v_fma_f64 v[26:27], -v[20:21], v[22:23], 1.0
	v_fmac_f64_e32 v[22:23], v[22:23], v[26:27]
	v_fma_f64 v[26:27], -v[20:21], v[22:23], 1.0
	v_fmac_f64_e32 v[22:23], v[22:23], v[26:27]
	v_mul_f64 v[18:19], v[12:13], v[22:23]
	v_fma_f64 v[12:13], -v[20:21], v[18:19], v[12:13]
	v_div_fmas_f64 v[12:13], v[12:13], v[22:23], v[18:19]
	v_div_fixup_f64 v[12:13], v[12:13], |v[16:17]|, |v[14:15]|
	v_fma_f64 v[12:13], v[12:13], v[12:13], 1.0
	v_cmp_gt_f64_e32 vcc, s[16:17], v[12:13]
	s_and_b64 s[46:47], vcc, exec
	s_cselect_b32 s39, 0x100, 0
	v_ldexp_f64 v[12:13], v[12:13], s39
	v_rsq_f64_e32 v[18:19], v[12:13]
	s_cselect_b32 s39, 0xffffff80, 0
	v_cmp_class_f64_e32 vcc, v[12:13], v24
	v_mul_f64 v[20:21], v[12:13], v[18:19]
	v_mul_f64 v[18:19], v[18:19], 0.5
	v_fma_f64 v[22:23], -v[18:19], v[20:21], 0.5
	v_fmac_f64_e32 v[20:21], v[20:21], v[22:23]
	v_fma_f64 v[26:27], -v[20:21], v[20:21], v[12:13]
	v_fmac_f64_e32 v[18:19], v[18:19], v[22:23]
	v_fmac_f64_e32 v[20:21], v[26:27], v[18:19]
	v_fma_f64 v[22:23], -v[20:21], v[20:21], v[12:13]
	v_fmac_f64_e32 v[20:21], v[22:23], v[18:19]
	v_ldexp_f64 v[18:19], v[20:21], s39
	v_cndmask_b32_e32 v13, v19, v13, vcc
	v_cndmask_b32_e32 v12, v18, v12, vcc
	v_mul_f64 v[12:13], |v[16:17]|, v[12:13]
.LBB9_85:                               ;   in Loop: Header=BB9_54 Depth=2
	s_cbranch_execnz .LBB9_87
.LBB9_86:                               ;   in Loop: Header=BB9_54 Depth=2
	v_and_b32_e32 v13, 0x7fffffff, v17
	v_mov_b32_e32 v12, v16
	v_and_b32_e32 v19, 0x7fffffff, v15
	v_mov_b32_e32 v18, v14
	v_div_scale_f64 v[20:21], s[46:47], v[18:19], v[18:19], v[12:13]
	v_rcp_f64_e32 v[22:23], v[20:21]
	v_div_scale_f64 v[12:13], vcc, v[12:13], v[18:19], v[12:13]
	v_fma_f64 v[26:27], -v[20:21], v[22:23], 1.0
	v_fmac_f64_e32 v[22:23], v[22:23], v[26:27]
	v_fma_f64 v[26:27], -v[20:21], v[22:23], 1.0
	v_fmac_f64_e32 v[22:23], v[22:23], v[26:27]
	v_mul_f64 v[18:19], v[12:13], v[22:23]
	v_fma_f64 v[12:13], -v[20:21], v[18:19], v[12:13]
	v_div_fmas_f64 v[12:13], v[12:13], v[22:23], v[18:19]
	v_div_fixup_f64 v[12:13], v[12:13], |v[14:15]|, |v[16:17]|
	v_fma_f64 v[12:13], v[12:13], v[12:13], 1.0
	v_cmp_gt_f64_e32 vcc, s[16:17], v[12:13]
	s_and_b64 s[46:47], vcc, exec
	s_cselect_b32 s39, 0x100, 0
	v_ldexp_f64 v[12:13], v[12:13], s39
	v_rsq_f64_e32 v[16:17], v[12:13]
	s_cselect_b32 s39, 0xffffff80, 0
	v_cmp_class_f64_e32 vcc, v[12:13], v24
	v_mul_f64 v[18:19], v[12:13], v[16:17]
	v_mul_f64 v[16:17], v[16:17], 0.5
	v_fma_f64 v[20:21], -v[16:17], v[18:19], 0.5
	v_fmac_f64_e32 v[18:19], v[18:19], v[20:21]
	v_fma_f64 v[22:23], -v[18:19], v[18:19], v[12:13]
	v_fmac_f64_e32 v[16:17], v[16:17], v[20:21]
	v_fmac_f64_e32 v[18:19], v[22:23], v[16:17]
	v_fma_f64 v[20:21], -v[18:19], v[18:19], v[12:13]
	v_fmac_f64_e32 v[18:19], v[20:21], v[16:17]
	v_ldexp_f64 v[16:17], v[18:19], s39
	v_cndmask_b32_e32 v13, v17, v13, vcc
	v_cndmask_b32_e32 v12, v16, v12, vcc
	v_mul_f64 v[12:13], |v[14:15]|, v[12:13]
.LBB9_87:                               ;   in Loop: Header=BB9_54 Depth=2
	v_add_f64 v[16:17], v[6:7], v[10:11]
	v_cmp_gt_f64_e64 vcc, |v[6:7]|, |v[10:11]|
	s_nop 1
	v_cndmask_b32_e32 v15, v7, v11, vcc
	v_cndmask_b32_e32 v14, v6, v10, vcc
	;; [unrolled: 1-line block ×4, first 2 shown]
	v_cmp_ngt_f64_e32 vcc, 0, v[16:17]
	s_cbranch_vccz .LBB9_90
; %bb.88:                               ;   in Loop: Header=BB9_54 Depth=2
	v_cmp_nlt_f64_e32 vcc, 0, v[16:17]
	s_cbranch_vccz .LBB9_91
; %bb.89:                               ;   in Loop: Header=BB9_54 Depth=2
	v_mul_f64 v[10:11], v[12:13], 0.5
	v_mul_f64 v[18:19], v[12:13], -0.5
	s_cbranch_execz .LBB9_92
	s_branch .LBB9_93
.LBB9_90:                               ;   in Loop: Header=BB9_54 Depth=2
                                        ; implicit-def: $vgpr18_vgpr19
                                        ; implicit-def: $vgpr10_vgpr11
	s_branch .LBB9_94
.LBB9_91:                               ;   in Loop: Header=BB9_54 Depth=2
                                        ; implicit-def: $vgpr18_vgpr19
                                        ; implicit-def: $vgpr10_vgpr11
.LBB9_92:                               ;   in Loop: Header=BB9_54 Depth=2
	v_add_f64 v[10:11], v[16:17], v[12:13]
	v_mul_f64 v[10:11], v[10:11], 0.5
	v_div_scale_f64 v[18:19], s[46:47], v[10:11], v[10:11], v[6:7]
	v_rcp_f64_e32 v[20:21], v[18:19]
	v_div_scale_f64 v[22:23], vcc, v[6:7], v[10:11], v[6:7]
	v_fma_f64 v[26:27], -v[18:19], v[20:21], 1.0
	v_fmac_f64_e32 v[20:21], v[20:21], v[26:27]
	v_fma_f64 v[26:27], -v[18:19], v[20:21], 1.0
	v_fmac_f64_e32 v[20:21], v[20:21], v[26:27]
	v_mul_f64 v[26:27], v[22:23], v[20:21]
	v_fma_f64 v[18:19], -v[18:19], v[26:27], v[22:23]
	v_div_scale_f64 v[22:23], s[46:47], v[10:11], v[10:11], v[8:9]
	v_rcp_f64_e32 v[28:29], v[22:23]
	v_div_fmas_f64 v[18:19], v[18:19], v[20:21], v[26:27]
	v_div_fixup_f64 v[18:19], v[18:19], v[10:11], v[6:7]
	v_fma_f64 v[20:21], -v[22:23], v[28:29], 1.0
	v_fmac_f64_e32 v[28:29], v[28:29], v[20:21]
	v_fma_f64 v[20:21], -v[22:23], v[28:29], 1.0
	v_fmac_f64_e32 v[28:29], v[28:29], v[20:21]
	v_div_scale_f64 v[20:21], vcc, v[8:9], v[10:11], v[8:9]
	v_mul_f64 v[26:27], v[20:21], v[28:29]
	v_fma_f64 v[20:21], -v[22:23], v[26:27], v[20:21]
	s_nop 1
	v_div_fmas_f64 v[20:21], v[20:21], v[28:29], v[26:27]
	v_div_fixup_f64 v[20:21], v[20:21], v[10:11], v[8:9]
	v_mul_f64 v[20:21], v[8:9], v[20:21]
	v_fma_f64 v[18:19], v[14:15], v[18:19], -v[20:21]
.LBB9_93:                               ;   in Loop: Header=BB9_54 Depth=2
	s_cbranch_execnz .LBB9_95
.LBB9_94:                               ;   in Loop: Header=BB9_54 Depth=2
	v_add_f64 v[10:11], v[16:17], -v[12:13]
	v_mul_f64 v[10:11], v[10:11], 0.5
	v_div_scale_f64 v[12:13], s[46:47], v[10:11], v[10:11], v[6:7]
	v_rcp_f64_e32 v[16:17], v[12:13]
	v_div_scale_f64 v[18:19], vcc, v[6:7], v[10:11], v[6:7]
	v_fma_f64 v[20:21], -v[12:13], v[16:17], 1.0
	v_fmac_f64_e32 v[16:17], v[16:17], v[20:21]
	v_fma_f64 v[20:21], -v[12:13], v[16:17], 1.0
	v_fmac_f64_e32 v[16:17], v[16:17], v[20:21]
	v_mul_f64 v[20:21], v[18:19], v[16:17]
	v_fma_f64 v[12:13], -v[12:13], v[20:21], v[18:19]
	v_div_scale_f64 v[18:19], s[46:47], v[10:11], v[10:11], v[8:9]
	v_rcp_f64_e32 v[22:23], v[18:19]
	v_div_fmas_f64 v[12:13], v[12:13], v[16:17], v[20:21]
	v_div_fixup_f64 v[6:7], v[12:13], v[10:11], v[6:7]
	v_fma_f64 v[12:13], -v[18:19], v[22:23], 1.0
	v_fmac_f64_e32 v[22:23], v[22:23], v[12:13]
	v_fma_f64 v[12:13], -v[18:19], v[22:23], 1.0
	v_fmac_f64_e32 v[22:23], v[22:23], v[12:13]
	v_div_scale_f64 v[12:13], vcc, v[8:9], v[10:11], v[8:9]
	v_mul_f64 v[16:17], v[12:13], v[22:23]
	v_fma_f64 v[12:13], -v[18:19], v[16:17], v[12:13]
	s_nop 1
	v_div_fmas_f64 v[12:13], v[12:13], v[22:23], v[16:17]
	v_div_fixup_f64 v[12:13], v[12:13], v[10:11], v[8:9]
	v_mul_f64 v[8:9], v[8:9], v[12:13]
	v_fma_f64 v[18:19], v[14:15], v[6:7], -v[8:9]
.LBB9_95:                               ;   in Loop: Header=BB9_54 Depth=2
	global_store_dwordx2 v2, v[10:11], s[42:43]
	global_store_dwordx2 v2, v[18:19], s[44:45]
	;; [unrolled: 1-line block ×3, first 2 shown]
	s_add_i32 s38, s38, 2
	s_cbranch_execz .LBB9_53
	s_branch .LBB9_100
.LBB9_96:                               ;   in Loop: Header=BB9_54 Depth=2
	v_mov_b64_e32 v[14:15], v[18:19]
.LBB9_97:                               ;   in Loop: Header=BB9_54 Depth=2
	v_mov_b64_e32 v[16:17], v[10:11]
.LBB9_98:                               ;   in Loop: Header=BB9_54 Depth=2
	v_mul_f64 v[10:11], v[12:13], v[16:17]
	v_add_f64 v[8:9], v[8:9], v[14:15]
	s_add_i32 s39, s37, 1
	global_store_dwordx2 v2, v[10:11], s[50:51]
	global_store_dwordx2 v2, v[8:9], s[42:43]
	s_mov_b64 s[8:9], -1
	s_and_b64 vcc, exec, s[48:49]
	s_cbranch_vccnz .LBB9_79
.LBB9_99:                               ;   in Loop: Header=BB9_54 Depth=2
	s_mov_b32 s37, s39
	s_and_b64 vcc, exec, s[8:9]
	s_cbranch_vccz .LBB9_53
.LBB9_100:                              ;   in Loop: Header=BB9_54 Depth=2
	s_cmp_gt_i32 s38, s29
	s_cselect_b64 s[8:9], -1, 0
	s_cmp_ge_i32 s37, s60
	s_cselect_b64 s[40:41], -1, 0
	s_or_b64 s[40:41], s[8:9], s[40:41]
	s_branch .LBB9_53
.LBB9_101:                              ;   in Loop: Header=BB9_102 Depth=2
	s_andn2_b64 vcc, exec, s[8:9]
	s_cbranch_vccz .LBB9_43
.LBB9_102:                              ;   Parent Loop BB9_3 Depth=1
                                        ; =>  This Loop Header: Depth=2
                                        ;       Child Loop BB9_104 Depth 3
                                        ;       Child Loop BB9_117 Depth 3
	s_ashr_i32 s37, s36, 31
	s_min_i32 s40, s29, s36
	s_lshl_b64 s[6:7], s[36:37], 3
	s_add_u32 s38, s66, s6
	s_addc_u32 s39, s67, s7
	s_add_u32 s8, s70, s6
	s_addc_u32 s9, s71, s7
	s_mov_b32 s37, s36
	s_mov_b64 s[42:43], -1
	s_cmp_le_i32 s37, s29
	s_mov_b64 s[44:45], -1
                                        ; implicit-def: $sgpr41
	s_cbranch_scc1 .LBB9_104
.LBB9_103:                              ;   in Loop: Header=BB9_102 Depth=2
	global_load_dwordx4 v[6:9], v2, s[38:39] offset:-8
	global_load_dwordx2 v[10:11], v2, s[8:9] offset:-16
	s_add_i32 s41, s37, -1
	s_add_u32 s38, s38, -8
	s_addc_u32 s39, s39, -1
	s_add_u32 s8, s8, -8
	s_mov_b64 s[42:43], 0
	s_addc_u32 s9, s9, -1
	s_waitcnt vmcnt(1)
	v_mul_f64 v[6:7], v[8:9], v[6:7]
	v_mul_f64 v[6:7], v[0:1], |v[6:7]|
	s_waitcnt vmcnt(0)
	v_cmp_le_f64_e64 s[44:45], |v[10:11]|, v[6:7]
.LBB9_104:                              ;   Parent Loop BB9_3 Depth=1
                                        ;     Parent Loop BB9_102 Depth=2
                                        ; =>    This Inner Loop Header: Depth=3
	s_andn2_b64 vcc, exec, s[44:45]
	s_cbranch_vccz .LBB9_106
; %bb.105:                              ;   in Loop: Header=BB9_104 Depth=3
	s_mov_b32 s37, s41
	s_mov_b64 s[42:43], -1
	s_cmp_le_i32 s37, s29
	s_mov_b64 s[44:45], -1
                                        ; implicit-def: $sgpr41
	s_cbranch_scc0 .LBB9_103
	s_branch .LBB9_104
.LBB9_106:                              ;   in Loop: Header=BB9_102 Depth=2
	s_andn2_b64 vcc, exec, s[42:43]
	s_cbranch_vccz .LBB9_108
; %bb.107:                              ;   in Loop: Header=BB9_102 Depth=2
	s_mov_b32 s40, s37
	global_store_dwordx2 v2, v[2:3], s[8:9] offset:-8
.LBB9_108:                              ;   in Loop: Header=BB9_102 Depth=2
	s_add_i32 s37, s36, -1
	s_cmp_eq_u32 s40, s36
	s_mov_b64 s[8:9], -1
	s_cbranch_scc1 .LBB9_123
; %bb.109:                              ;   in Loop: Header=BB9_102 Depth=2
	s_add_u32 s38, s58, s6
	s_addc_u32 s39, s59, s7
	global_load_dwordx2 v[6:7], v2, s[38:39]
	s_cmp_lg_u32 s40, s37
	s_cbranch_scc0 .LBB9_124
; %bb.110:                              ;   in Loop: Header=BB9_102 Depth=2
	s_mov_b64 s[42:43], 0
	s_cmp_lg_u32 s73, s60
	s_mov_b32 s37, s60
	s_mov_b64 s[44:45], 0
	s_cbranch_scc0 .LBB9_125
; %bb.111:                              ;   in Loop: Header=BB9_102 Depth=2
	s_add_u32 s44, s14, s6
	s_addc_u32 s45, s15, s7
	global_load_dwordx2 v[8:9], v2, s[44:45] offset:-8
	global_load_dwordx2 v[10:11], v2, s[38:39] offset:-8
	s_waitcnt vmcnt(1)
	v_cmp_gt_f64_e32 vcc, s[16:17], v[8:9]
	s_and_b64 s[6:7], vcc, exec
	s_cselect_b32 s6, 0x100, 0
	v_ldexp_f64 v[8:9], v[8:9], s6
	v_rsq_f64_e32 v[12:13], v[8:9]
	s_cselect_b32 s6, 0xffffff80, 0
	v_cmp_class_f64_e32 vcc, v[8:9], v24
	s_waitcnt vmcnt(0)
	v_add_f64 v[10:11], v[10:11], -v[6:7]
	v_mul_f64 v[14:15], v[8:9], v[12:13]
	v_mul_f64 v[12:13], v[12:13], 0.5
	v_fma_f64 v[16:17], -v[12:13], v[14:15], 0.5
	v_fmac_f64_e32 v[14:15], v[14:15], v[16:17]
	v_fmac_f64_e32 v[12:13], v[12:13], v[16:17]
	v_fma_f64 v[16:17], -v[14:15], v[14:15], v[8:9]
	v_fmac_f64_e32 v[14:15], v[16:17], v[12:13]
	v_fma_f64 v[16:17], -v[14:15], v[14:15], v[8:9]
	v_fmac_f64_e32 v[14:15], v[16:17], v[12:13]
	v_ldexp_f64 v[12:13], v[14:15], s6
	v_cndmask_b32_e32 v9, v13, v9, vcc
	v_cndmask_b32_e32 v8, v12, v8, vcc
	v_add_f64 v[12:13], v[8:9], v[8:9]
	v_div_scale_f64 v[14:15], s[6:7], v[12:13], v[12:13], v[10:11]
	v_rcp_f64_e32 v[16:17], v[14:15]
	v_div_scale_f64 v[18:19], vcc, v[10:11], v[12:13], v[10:11]
	v_fma_f64 v[20:21], -v[14:15], v[16:17], 1.0
	v_fmac_f64_e32 v[16:17], v[16:17], v[20:21]
	v_fma_f64 v[20:21], -v[14:15], v[16:17], 1.0
	v_fmac_f64_e32 v[16:17], v[16:17], v[20:21]
	v_mul_f64 v[20:21], v[18:19], v[16:17]
	v_fma_f64 v[14:15], -v[14:15], v[20:21], v[18:19]
	v_div_fmas_f64 v[14:15], v[14:15], v[16:17], v[20:21]
	v_div_fixup_f64 v[10:11], v[14:15], v[12:13], v[10:11]
	v_fma_f64 v[12:13], v[10:11], v[10:11], 1.0
	v_cmp_gt_f64_e32 vcc, s[16:17], v[12:13]
	s_and_b64 s[6:7], vcc, exec
	s_cselect_b32 s37, 0x100, 0
	s_cselect_b32 s48, 0xffffff80, 0
	s_ashr_i32 s41, s40, 31
	s_lshl_b64 s[6:7], s[40:41], 3
	s_add_u32 s46, s58, s6
	s_addc_u32 s47, s59, s7
	global_load_dwordx2 v[14:15], v2, s[46:47]
	v_ldexp_f64 v[12:13], v[12:13], s37
	v_rsq_f64_e32 v[16:17], v[12:13]
	v_cmp_class_f64_e32 vcc, v[12:13], v24
	s_cmp_ge_i32 s40, s36
	v_mul_f64 v[18:19], v[12:13], v[16:17]
	v_mul_f64 v[16:17], v[16:17], 0.5
	v_fma_f64 v[20:21], -v[16:17], v[18:19], 0.5
	v_fmac_f64_e32 v[18:19], v[18:19], v[20:21]
	v_fmac_f64_e32 v[16:17], v[16:17], v[20:21]
	v_fma_f64 v[20:21], -v[18:19], v[18:19], v[12:13]
	v_fmac_f64_e32 v[18:19], v[20:21], v[16:17]
	v_fma_f64 v[20:21], -v[18:19], v[18:19], v[12:13]
	v_fmac_f64_e32 v[18:19], v[20:21], v[16:17]
	v_ldexp_f64 v[16:17], v[18:19], s48
	v_cndmask_b32_e32 v13, v17, v13, vcc
	v_cndmask_b32_e32 v12, v16, v12, vcc
	v_and_b32_e32 v16, 0x7fffffff, v13
	v_or_b32_e32 v13, 0x80000000, v13
	v_cmp_nle_f64_e32 vcc, 0, v[10:11]
	s_nop 1
	v_cndmask_b32_e32 v13, v16, v13, vcc
	v_add_f64 v[10:11], v[10:11], v[12:13]
	v_div_scale_f64 v[12:13], s[48:49], v[10:11], v[10:11], v[8:9]
	v_rcp_f64_e32 v[16:17], v[12:13]
	v_div_scale_f64 v[18:19], vcc, v[8:9], v[10:11], v[8:9]
	v_fma_f64 v[20:21], -v[12:13], v[16:17], 1.0
	v_fmac_f64_e32 v[16:17], v[16:17], v[20:21]
	v_fma_f64 v[20:21], -v[12:13], v[16:17], 1.0
	v_fmac_f64_e32 v[16:17], v[16:17], v[20:21]
	v_mul_f64 v[20:21], v[18:19], v[16:17]
	v_fma_f64 v[12:13], -v[12:13], v[20:21], v[18:19]
	v_div_fmas_f64 v[12:13], v[12:13], v[16:17], v[20:21]
	v_div_fixup_f64 v[8:9], v[12:13], v[10:11], v[8:9]
	v_add_f64 v[8:9], v[6:7], -v[8:9]
	v_mov_b64_e32 v[12:13], 0
	s_waitcnt vmcnt(0)
	v_add_f64 v[14:15], v[14:15], -v[8:9]
	v_mul_f64 v[16:17], v[14:15], v[14:15]
	s_cbranch_scc1 .LBB9_145
; %bb.112:                              ;   in Loop: Header=BB9_102 Depth=2
	s_add_u32 s6, s14, s6
	s_addc_u32 s7, s15, s7
	global_load_dwordx2 v[10:11], v2, s[6:7]
	global_load_dwordx2 v[20:21], v2, s[46:47] offset:8
	s_waitcnt vmcnt(1)
	v_add_f64 v[12:13], v[16:17], v[10:11]
	v_div_scale_f64 v[22:23], s[6:7], v[12:13], v[12:13], v[16:17]
	v_div_scale_f64 v[28:29], s[6:7], v[12:13], v[12:13], v[10:11]
	v_rcp_f64_e32 v[30:31], v[22:23]
	v_rcp_f64_e32 v[32:33], v[28:29]
	v_div_scale_f64 v[26:27], vcc, v[16:17], v[12:13], v[16:17]
	v_fma_f64 v[36:37], -v[22:23], v[30:31], 1.0
	v_fma_f64 v[38:39], -v[28:29], v[32:33], 1.0
	v_fmac_f64_e32 v[30:31], v[30:31], v[36:37]
	v_fmac_f64_e32 v[32:33], v[32:33], v[38:39]
	v_fma_f64 v[36:37], -v[22:23], v[30:31], 1.0
	v_fma_f64 v[38:39], -v[28:29], v[32:33], 1.0
	v_fmac_f64_e32 v[30:31], v[30:31], v[36:37]
	v_div_scale_f64 v[34:35], s[6:7], v[10:11], v[12:13], v[10:11]
	v_fmac_f64_e32 v[32:33], v[32:33], v[38:39]
	v_mul_f64 v[36:37], v[26:27], v[30:31]
	v_mul_f64 v[38:39], v[34:35], v[32:33]
	v_fma_f64 v[22:23], -v[22:23], v[36:37], v[26:27]
	v_fma_f64 v[26:27], -v[28:29], v[38:39], v[34:35]
	v_div_fmas_f64 v[22:23], v[22:23], v[30:31], v[36:37]
	s_mov_b64 vcc, s[6:7]
	v_div_fixup_f64 v[16:17], v[22:23], v[12:13], v[16:17]
	v_div_fmas_f64 v[22:23], v[26:27], v[32:33], v[38:39]
	v_div_fixup_f64 v[12:13], v[22:23], v[12:13], v[10:11]
	s_waitcnt vmcnt(0)
	v_add_f64 v[18:19], v[20:21], -v[8:9]
	v_mul_f64 v[22:23], v[14:15], v[12:13]
	v_fma_f64 v[18:19], v[16:17], v[18:19], -v[22:23]
	v_cmp_eq_f64_e32 vcc, 0, v[16:17]
	v_add_f64 v[20:21], v[20:21], -v[18:19]
	v_add_f64 v[14:15], v[14:15], v[20:21]
	global_store_dwordx2 v2, v[14:15], s[46:47]
	s_cbranch_vccnz .LBB9_114
; %bb.113:                              ;   in Loop: Header=BB9_102 Depth=2
	v_mul_f64 v[10:11], v[18:19], v[18:19]
	v_div_scale_f64 v[14:15], s[6:7], v[16:17], v[16:17], v[10:11]
	v_rcp_f64_e32 v[20:21], v[14:15]
	v_div_scale_f64 v[22:23], vcc, v[10:11], v[16:17], v[10:11]
	v_fma_f64 v[26:27], -v[14:15], v[20:21], 1.0
	v_fmac_f64_e32 v[20:21], v[20:21], v[26:27]
	v_fma_f64 v[26:27], -v[14:15], v[20:21], 1.0
	v_fmac_f64_e32 v[20:21], v[20:21], v[26:27]
	v_mul_f64 v[26:27], v[22:23], v[20:21]
	v_fma_f64 v[14:15], -v[14:15], v[26:27], v[22:23]
	v_div_fmas_f64 v[14:15], v[14:15], v[20:21], v[26:27]
	v_div_fixup_f64 v[10:11], v[14:15], v[16:17], v[10:11]
.LBB9_114:                              ;   in Loop: Header=BB9_102 Depth=2
	s_add_i32 s6, s40, 1
	s_cmp_ge_i32 s6, s36
	s_cbranch_scc1 .LBB9_143
; %bb.115:                              ;   in Loop: Header=BB9_102 Depth=2
	s_ashr_i32 s7, s6, 31
	s_lshl_b64 s[6:7], s[6:7], 3
	s_add_u32 s46, s62, s6
	s_addc_u32 s47, s63, s7
	s_add_u32 s48, s68, s6
	s_addc_u32 s49, s69, s7
	s_mov_b32 s37, 1
	global_load_dwordx2 v[20:21], v2, s[46:47]
	s_cmp_eq_u32 s37, 0
	s_waitcnt vmcnt(0)
	v_add_f64 v[14:15], v[10:11], v[20:21]
	s_cbranch_scc1 .LBB9_117
.LBB9_116:                              ;   in Loop: Header=BB9_102 Depth=2
	v_mul_f64 v[12:13], v[12:13], v[14:15]
	global_store_dwordx2 v2, v[12:13], s[46:47] offset:-8
.LBB9_117:                              ;   Parent Loop BB9_3 Depth=1
                                        ;     Parent Loop BB9_102 Depth=2
                                        ; =>    This Inner Loop Header: Depth=3
	global_load_dwordx2 v[26:27], v2, s[48:49]
	v_div_scale_f64 v[12:13], s[6:7], v[14:15], v[14:15], v[10:11]
	v_div_scale_f64 v[28:29], s[6:7], v[14:15], v[14:15], v[20:21]
	v_rcp_f64_e32 v[30:31], v[12:13]
	v_rcp_f64_e32 v[32:33], v[28:29]
	v_div_scale_f64 v[22:23], vcc, v[10:11], v[14:15], v[10:11]
	v_fma_f64 v[36:37], -v[12:13], v[30:31], 1.0
	v_fma_f64 v[38:39], -v[28:29], v[32:33], 1.0
	v_fmac_f64_e32 v[30:31], v[30:31], v[36:37]
	v_fmac_f64_e32 v[32:33], v[32:33], v[38:39]
	v_fma_f64 v[36:37], -v[12:13], v[30:31], 1.0
	v_fma_f64 v[38:39], -v[28:29], v[32:33], 1.0
	v_fmac_f64_e32 v[30:31], v[30:31], v[36:37]
	v_div_scale_f64 v[34:35], s[6:7], v[20:21], v[14:15], v[20:21]
	v_fmac_f64_e32 v[32:33], v[32:33], v[38:39]
	v_mul_f64 v[36:37], v[22:23], v[30:31]
	v_mul_f64 v[38:39], v[34:35], v[32:33]
	v_fma_f64 v[12:13], -v[12:13], v[36:37], v[22:23]
	v_fma_f64 v[28:29], -v[28:29], v[38:39], v[34:35]
	v_div_fmas_f64 v[12:13], v[12:13], v[30:31], v[36:37]
	s_mov_b64 vcc, s[6:7]
	v_div_fixup_f64 v[22:23], v[12:13], v[14:15], v[10:11]
	v_div_fmas_f64 v[10:11], v[28:29], v[32:33], v[38:39]
	v_div_fixup_f64 v[12:13], v[10:11], v[14:15], v[20:21]
	v_mul_f64 v[10:11], v[18:19], v[12:13]
	v_cmp_eq_f64_e32 vcc, 0, v[22:23]
	s_and_b64 vcc, exec, vcc
	s_waitcnt vmcnt(0)
	v_add_f64 v[14:15], v[26:27], -v[8:9]
	v_fma_f64 v[14:15], v[22:23], v[14:15], -v[10:11]
	v_add_f64 v[10:11], v[26:27], -v[14:15]
	v_add_f64 v[10:11], v[18:19], v[10:11]
	global_store_dwordx2 v2, v[10:11], s[48:49] offset:-8
	s_cbranch_vccz .LBB9_122
; %bb.118:                              ;   in Loop: Header=BB9_117 Depth=3
	v_mul_f64 v[10:11], v[16:17], v[20:21]
	s_cbranch_execnz .LBB9_120
.LBB9_119:                              ;   in Loop: Header=BB9_117 Depth=3
	v_mul_f64 v[10:11], v[14:15], v[14:15]
	v_div_scale_f64 v[16:17], s[6:7], v[22:23], v[22:23], v[10:11]
	v_rcp_f64_e32 v[18:19], v[16:17]
	v_div_scale_f64 v[20:21], vcc, v[10:11], v[22:23], v[10:11]
	v_fma_f64 v[26:27], -v[16:17], v[18:19], 1.0
	v_fmac_f64_e32 v[18:19], v[18:19], v[26:27]
	v_fma_f64 v[26:27], -v[16:17], v[18:19], 1.0
	v_fmac_f64_e32 v[18:19], v[18:19], v[26:27]
	v_mul_f64 v[26:27], v[20:21], v[18:19]
	v_fma_f64 v[16:17], -v[16:17], v[26:27], v[20:21]
	v_div_fmas_f64 v[16:17], v[16:17], v[18:19], v[26:27]
	v_div_fixup_f64 v[10:11], v[16:17], v[22:23], v[10:11]
.LBB9_120:                              ;   in Loop: Header=BB9_117 Depth=3
	s_add_i32 s37, s37, 1
	s_add_i32 s6, s40, s37
	s_add_u32 s46, s46, 8
	s_addc_u32 s47, s47, 0
	s_add_u32 s48, s48, 8
	s_addc_u32 s49, s49, 0
	s_cmp_ge_i32 s6, s36
	s_cbranch_scc1 .LBB9_144
; %bb.121:                              ;   in Loop: Header=BB9_117 Depth=3
	v_mov_b64_e32 v[16:17], v[22:23]
	v_mov_b64_e32 v[18:19], v[14:15]
	global_load_dwordx2 v[20:21], v2, s[46:47]
	s_cmp_eq_u32 s37, 0
	s_waitcnt vmcnt(0)
	v_add_f64 v[14:15], v[10:11], v[20:21]
	s_cbranch_scc0 .LBB9_116
	s_branch .LBB9_117
.LBB9_122:                              ;   in Loop: Header=BB9_117 Depth=3
                                        ; implicit-def: $vgpr10_vgpr11
	s_branch .LBB9_119
.LBB9_123:                              ;   in Loop: Header=BB9_102 Depth=2
	s_mov_b32 s36, s37
	s_cbranch_execz .LBB9_101
	s_branch .LBB9_147
.LBB9_124:                              ;   in Loop: Header=BB9_102 Depth=2
	s_mov_b64 s[42:43], -1
	s_mov_b64 s[44:45], 0
                                        ; implicit-def: $sgpr37
.LBB9_125:                              ;   in Loop: Header=BB9_102 Depth=2
	s_and_b64 vcc, exec, s[42:43]
	s_cbranch_vccz .LBB9_146
.LBB9_126:                              ;   in Loop: Header=BB9_102 Depth=2
	s_ashr_i32 s41, s40, 31
	s_lshl_b64 s[40:41], s[40:41], 3
	s_add_u32 s6, s14, s40
	s_addc_u32 s7, s15, s41
	global_load_dwordx2 v[8:9], v2, s[6:7]
	s_waitcnt vmcnt(0)
	v_cmp_gt_f64_e32 vcc, s[16:17], v[8:9]
	s_and_b64 s[42:43], vcc, exec
	s_cselect_b32 s37, 0x100, 0
	s_cselect_b32 s42, 0xffffff80, 0
	s_add_u32 s40, s58, s40
	s_addc_u32 s41, s59, s41
	global_load_dwordx2 v[10:11], v2, s[40:41]
	v_ldexp_f64 v[8:9], v[8:9], s37
	v_rsq_f64_e32 v[12:13], v[8:9]
	v_cmp_class_f64_e32 vcc, v[8:9], v24
	v_mul_f64 v[14:15], v[8:9], v[12:13]
	v_mul_f64 v[12:13], v[12:13], 0.5
	v_fma_f64 v[16:17], -v[12:13], v[14:15], 0.5
	v_fmac_f64_e32 v[14:15], v[14:15], v[16:17]
	v_fmac_f64_e32 v[12:13], v[12:13], v[16:17]
	v_fma_f64 v[16:17], -v[14:15], v[14:15], v[8:9]
	v_fmac_f64_e32 v[14:15], v[16:17], v[12:13]
	v_fma_f64 v[16:17], -v[14:15], v[14:15], v[8:9]
	v_fmac_f64_e32 v[14:15], v[16:17], v[12:13]
	v_ldexp_f64 v[12:13], v[14:15], s42
	v_cndmask_b32_e32 v9, v13, v9, vcc
	v_cndmask_b32_e32 v8, v12, v8, vcc
	v_add_f64 v[16:17], v[8:9], v[8:9]
	s_waitcnt vmcnt(0)
	v_add_f64 v[14:15], v[6:7], -v[10:11]
	v_cmp_ngt_f64_e64 s[42:43], |v[14:15]|, |v[16:17]|
	s_and_b64 vcc, exec, s[42:43]
	s_cbranch_vccz .LBB9_129
; %bb.127:                              ;   in Loop: Header=BB9_102 Depth=2
	v_cmp_nlt_f64_e64 s[42:43], |v[14:15]|, |v[16:17]|
	s_and_b64 vcc, exec, s[42:43]
	s_cbranch_vccz .LBB9_130
; %bb.128:                              ;   in Loop: Header=BB9_102 Depth=2
	v_mul_f64 v[12:13], |v[16:17]|, s[24:25]
	s_cbranch_execz .LBB9_131
	s_branch .LBB9_132
.LBB9_129:                              ;   in Loop: Header=BB9_102 Depth=2
                                        ; implicit-def: $vgpr12_vgpr13
	s_branch .LBB9_133
.LBB9_130:                              ;   in Loop: Header=BB9_102 Depth=2
                                        ; implicit-def: $vgpr12_vgpr13
.LBB9_131:                              ;   in Loop: Header=BB9_102 Depth=2
	v_and_b32_e32 v13, 0x7fffffff, v15
	v_mov_b32_e32 v12, v14
	v_and_b32_e32 v19, 0x7fffffff, v17
	v_mov_b32_e32 v18, v16
	v_div_scale_f64 v[20:21], s[42:43], v[18:19], v[18:19], v[12:13]
	v_rcp_f64_e32 v[22:23], v[20:21]
	v_div_scale_f64 v[12:13], vcc, v[12:13], v[18:19], v[12:13]
	v_fma_f64 v[26:27], -v[20:21], v[22:23], 1.0
	v_fmac_f64_e32 v[22:23], v[22:23], v[26:27]
	v_fma_f64 v[26:27], -v[20:21], v[22:23], 1.0
	v_fmac_f64_e32 v[22:23], v[22:23], v[26:27]
	v_mul_f64 v[18:19], v[12:13], v[22:23]
	v_fma_f64 v[12:13], -v[20:21], v[18:19], v[12:13]
	v_div_fmas_f64 v[12:13], v[12:13], v[22:23], v[18:19]
	v_div_fixup_f64 v[12:13], v[12:13], |v[16:17]|, |v[14:15]|
	v_fma_f64 v[12:13], v[12:13], v[12:13], 1.0
	v_cmp_gt_f64_e32 vcc, s[16:17], v[12:13]
	s_and_b64 s[42:43], vcc, exec
	s_cselect_b32 s37, 0x100, 0
	v_ldexp_f64 v[12:13], v[12:13], s37
	v_rsq_f64_e32 v[18:19], v[12:13]
	s_cselect_b32 s37, 0xffffff80, 0
	v_cmp_class_f64_e32 vcc, v[12:13], v24
	v_mul_f64 v[20:21], v[12:13], v[18:19]
	v_mul_f64 v[18:19], v[18:19], 0.5
	v_fma_f64 v[22:23], -v[18:19], v[20:21], 0.5
	v_fmac_f64_e32 v[20:21], v[20:21], v[22:23]
	v_fma_f64 v[26:27], -v[20:21], v[20:21], v[12:13]
	v_fmac_f64_e32 v[18:19], v[18:19], v[22:23]
	v_fmac_f64_e32 v[20:21], v[26:27], v[18:19]
	v_fma_f64 v[22:23], -v[20:21], v[20:21], v[12:13]
	v_fmac_f64_e32 v[20:21], v[22:23], v[18:19]
	v_ldexp_f64 v[18:19], v[20:21], s37
	v_cndmask_b32_e32 v13, v19, v13, vcc
	v_cndmask_b32_e32 v12, v18, v12, vcc
	v_mul_f64 v[12:13], |v[16:17]|, v[12:13]
.LBB9_132:                              ;   in Loop: Header=BB9_102 Depth=2
	s_cbranch_execnz .LBB9_134
.LBB9_133:                              ;   in Loop: Header=BB9_102 Depth=2
	v_and_b32_e32 v13, 0x7fffffff, v17
	v_mov_b32_e32 v12, v16
	v_and_b32_e32 v19, 0x7fffffff, v15
	v_mov_b32_e32 v18, v14
	v_div_scale_f64 v[20:21], s[42:43], v[18:19], v[18:19], v[12:13]
	v_rcp_f64_e32 v[22:23], v[20:21]
	v_div_scale_f64 v[12:13], vcc, v[12:13], v[18:19], v[12:13]
	v_fma_f64 v[26:27], -v[20:21], v[22:23], 1.0
	v_fmac_f64_e32 v[22:23], v[22:23], v[26:27]
	v_fma_f64 v[26:27], -v[20:21], v[22:23], 1.0
	v_fmac_f64_e32 v[22:23], v[22:23], v[26:27]
	v_mul_f64 v[18:19], v[12:13], v[22:23]
	v_fma_f64 v[12:13], -v[20:21], v[18:19], v[12:13]
	v_div_fmas_f64 v[12:13], v[12:13], v[22:23], v[18:19]
	v_div_fixup_f64 v[12:13], v[12:13], |v[14:15]|, |v[16:17]|
	v_fma_f64 v[12:13], v[12:13], v[12:13], 1.0
	v_cmp_gt_f64_e32 vcc, s[16:17], v[12:13]
	s_and_b64 s[42:43], vcc, exec
	s_cselect_b32 s37, 0x100, 0
	v_ldexp_f64 v[12:13], v[12:13], s37
	v_rsq_f64_e32 v[16:17], v[12:13]
	s_cselect_b32 s37, 0xffffff80, 0
	v_cmp_class_f64_e32 vcc, v[12:13], v24
	v_mul_f64 v[18:19], v[12:13], v[16:17]
	v_mul_f64 v[16:17], v[16:17], 0.5
	v_fma_f64 v[20:21], -v[16:17], v[18:19], 0.5
	v_fmac_f64_e32 v[18:19], v[18:19], v[20:21]
	v_fma_f64 v[22:23], -v[18:19], v[18:19], v[12:13]
	v_fmac_f64_e32 v[16:17], v[16:17], v[20:21]
	v_fmac_f64_e32 v[18:19], v[22:23], v[16:17]
	v_fma_f64 v[20:21], -v[18:19], v[18:19], v[12:13]
	v_fmac_f64_e32 v[18:19], v[20:21], v[16:17]
	v_ldexp_f64 v[16:17], v[18:19], s37
	v_cndmask_b32_e32 v13, v17, v13, vcc
	v_cndmask_b32_e32 v12, v16, v12, vcc
	v_mul_f64 v[12:13], |v[14:15]|, v[12:13]
.LBB9_134:                              ;   in Loop: Header=BB9_102 Depth=2
	v_add_f64 v[16:17], v[6:7], v[10:11]
	v_cmp_gt_f64_e64 vcc, |v[6:7]|, |v[10:11]|
	s_nop 1
	v_cndmask_b32_e32 v15, v7, v11, vcc
	v_cndmask_b32_e32 v14, v6, v10, vcc
	;; [unrolled: 1-line block ×4, first 2 shown]
	v_cmp_ngt_f64_e32 vcc, 0, v[16:17]
	s_cbranch_vccz .LBB9_137
; %bb.135:                              ;   in Loop: Header=BB9_102 Depth=2
	v_cmp_nlt_f64_e32 vcc, 0, v[16:17]
	s_cbranch_vccz .LBB9_138
; %bb.136:                              ;   in Loop: Header=BB9_102 Depth=2
	v_mul_f64 v[10:11], v[12:13], 0.5
	v_mul_f64 v[18:19], v[12:13], -0.5
	s_cbranch_execz .LBB9_139
	s_branch .LBB9_140
.LBB9_137:                              ;   in Loop: Header=BB9_102 Depth=2
                                        ; implicit-def: $vgpr18_vgpr19
                                        ; implicit-def: $vgpr10_vgpr11
	s_branch .LBB9_141
.LBB9_138:                              ;   in Loop: Header=BB9_102 Depth=2
                                        ; implicit-def: $vgpr18_vgpr19
                                        ; implicit-def: $vgpr10_vgpr11
.LBB9_139:                              ;   in Loop: Header=BB9_102 Depth=2
	v_add_f64 v[10:11], v[16:17], v[12:13]
	v_mul_f64 v[10:11], v[10:11], 0.5
	v_div_scale_f64 v[18:19], s[42:43], v[10:11], v[10:11], v[6:7]
	v_rcp_f64_e32 v[20:21], v[18:19]
	v_div_scale_f64 v[22:23], vcc, v[6:7], v[10:11], v[6:7]
	v_fma_f64 v[26:27], -v[18:19], v[20:21], 1.0
	v_fmac_f64_e32 v[20:21], v[20:21], v[26:27]
	v_fma_f64 v[26:27], -v[18:19], v[20:21], 1.0
	v_fmac_f64_e32 v[20:21], v[20:21], v[26:27]
	v_mul_f64 v[26:27], v[22:23], v[20:21]
	v_fma_f64 v[18:19], -v[18:19], v[26:27], v[22:23]
	v_div_scale_f64 v[22:23], s[42:43], v[10:11], v[10:11], v[8:9]
	v_rcp_f64_e32 v[28:29], v[22:23]
	v_div_fmas_f64 v[18:19], v[18:19], v[20:21], v[26:27]
	v_div_fixup_f64 v[18:19], v[18:19], v[10:11], v[6:7]
	v_fma_f64 v[20:21], -v[22:23], v[28:29], 1.0
	v_fmac_f64_e32 v[28:29], v[28:29], v[20:21]
	v_fma_f64 v[20:21], -v[22:23], v[28:29], 1.0
	v_fmac_f64_e32 v[28:29], v[28:29], v[20:21]
	v_div_scale_f64 v[20:21], vcc, v[8:9], v[10:11], v[8:9]
	v_mul_f64 v[26:27], v[20:21], v[28:29]
	v_fma_f64 v[20:21], -v[22:23], v[26:27], v[20:21]
	s_nop 1
	v_div_fmas_f64 v[20:21], v[20:21], v[28:29], v[26:27]
	v_div_fixup_f64 v[20:21], v[20:21], v[10:11], v[8:9]
	v_mul_f64 v[20:21], v[8:9], v[20:21]
	v_fma_f64 v[18:19], v[14:15], v[18:19], -v[20:21]
.LBB9_140:                              ;   in Loop: Header=BB9_102 Depth=2
	s_cbranch_execnz .LBB9_142
.LBB9_141:                              ;   in Loop: Header=BB9_102 Depth=2
	v_add_f64 v[10:11], v[16:17], -v[12:13]
	v_mul_f64 v[10:11], v[10:11], 0.5
	v_div_scale_f64 v[12:13], s[42:43], v[10:11], v[10:11], v[6:7]
	v_rcp_f64_e32 v[16:17], v[12:13]
	v_div_scale_f64 v[18:19], vcc, v[6:7], v[10:11], v[6:7]
	v_fma_f64 v[20:21], -v[12:13], v[16:17], 1.0
	v_fmac_f64_e32 v[16:17], v[16:17], v[20:21]
	v_fma_f64 v[20:21], -v[12:13], v[16:17], 1.0
	v_fmac_f64_e32 v[16:17], v[16:17], v[20:21]
	v_mul_f64 v[20:21], v[18:19], v[16:17]
	v_fma_f64 v[12:13], -v[12:13], v[20:21], v[18:19]
	v_div_scale_f64 v[18:19], s[42:43], v[10:11], v[10:11], v[8:9]
	v_rcp_f64_e32 v[22:23], v[18:19]
	v_div_fmas_f64 v[12:13], v[12:13], v[16:17], v[20:21]
	v_div_fixup_f64 v[6:7], v[12:13], v[10:11], v[6:7]
	v_fma_f64 v[12:13], -v[18:19], v[22:23], 1.0
	v_fmac_f64_e32 v[22:23], v[22:23], v[12:13]
	v_fma_f64 v[12:13], -v[18:19], v[22:23], 1.0
	v_fmac_f64_e32 v[22:23], v[22:23], v[12:13]
	v_div_scale_f64 v[12:13], vcc, v[8:9], v[10:11], v[8:9]
	v_mul_f64 v[16:17], v[12:13], v[22:23]
	v_fma_f64 v[12:13], -v[18:19], v[16:17], v[12:13]
	s_nop 1
	v_div_fmas_f64 v[12:13], v[12:13], v[22:23], v[16:17]
	v_div_fixup_f64 v[12:13], v[12:13], v[10:11], v[8:9]
	v_mul_f64 v[8:9], v[8:9], v[12:13]
	v_fma_f64 v[18:19], v[14:15], v[6:7], -v[8:9]
.LBB9_142:                              ;   in Loop: Header=BB9_102 Depth=2
	global_store_dwordx2 v2, v[10:11], s[38:39]
	global_store_dwordx2 v2, v[18:19], s[40:41]
	;; [unrolled: 1-line block ×3, first 2 shown]
	s_add_i32 s36, s36, -2
	s_cbranch_execz .LBB9_101
	s_branch .LBB9_147
.LBB9_143:                              ;   in Loop: Header=BB9_102 Depth=2
	v_mov_b64_e32 v[14:15], v[18:19]
.LBB9_144:                              ;   in Loop: Header=BB9_102 Depth=2
	v_mov_b64_e32 v[16:17], v[10:11]
.LBB9_145:                              ;   in Loop: Header=BB9_102 Depth=2
	v_mul_f64 v[10:11], v[16:17], v[12:13]
	v_add_f64 v[8:9], v[8:9], v[14:15]
	s_add_i32 s37, s73, 1
	global_store_dwordx2 v2, v[10:11], s[44:45] offset:-8
	global_store_dwordx2 v2, v[8:9], s[38:39]
	s_mov_b64 s[44:45], -1
	s_and_b64 vcc, exec, s[42:43]
	s_cbranch_vccnz .LBB9_126
.LBB9_146:                              ;   in Loop: Header=BB9_102 Depth=2
	s_mov_b32 s73, s37
	s_and_b64 vcc, exec, s[44:45]
	s_cbranch_vccz .LBB9_101
.LBB9_147:                              ;   in Loop: Header=BB9_102 Depth=2
	s_cmp_lt_i32 s36, s29
	s_cselect_b64 s[6:7], -1, 0
	s_cmp_ge_i32 s73, s60
	s_cselect_b64 s[8:9], -1, 0
	s_or_b64 s[8:9], s[6:7], s[8:9]
	s_branch .LBB9_101
.LBB9_148:
	s_cmp_lt_i32 s33, 2
	s_cbranch_scc1 .LBB9_159
; %bb.149:
	s_load_dwordx2 s[0:1], s[0:1], 0x28
	s_lshl_b64 s[4:5], s[2:3], 2
	s_mov_b32 s2, 1
	v_mov_b32_e32 v0, 0
	s_waitcnt lgkmcnt(0)
	s_add_u32 s0, s0, s4
	s_addc_u32 s1, s1, s5
	s_branch .LBB9_151
.LBB9_150:                              ;   in Loop: Header=BB9_151 Depth=1
	s_add_i32 s2, s2, 1
	s_add_u32 s14, s14, 8
	s_addc_u32 s15, s15, 0
	s_cmp_lg_u32 s33, s2
	s_cbranch_scc0 .LBB9_153
.LBB9_151:                              ; =>This Inner Loop Header: Depth=1
	global_load_dwordx2 v[2:3], v0, s[14:15]
	s_waitcnt vmcnt(0)
	v_cmp_eq_f64_e32 vcc, 0, v[2:3]
	s_cbranch_vccnz .LBB9_150
; %bb.152:                              ;   in Loop: Header=BB9_151 Depth=1
	global_load_dword v1, v0, s[0:1]
	s_waitcnt vmcnt(0)
	v_add_u32_e32 v1, 1, v1
	global_store_dword v0, v1, s[0:1]
	s_branch .LBB9_150
.LBB9_153:
	s_add_u32 s0, s12, s10
	s_addc_u32 s1, s13, s11
	s_add_u32 s0, s0, 8
	s_addc_u32 s1, s1, 0
	s_mov_b32 s2, 1
	v_mov_b32_e32 v4, 0
	s_branch .LBB9_155
.LBB9_154:                              ;   in Loop: Header=BB9_155 Depth=1
	s_add_i32 s2, s2, 1
	s_add_u32 s0, s0, 8
	s_addc_u32 s1, s1, 0
	s_cmp_lg_u32 s2, s33
	s_cbranch_scc0 .LBB9_159
.LBB9_155:                              ; =>This Loop Header: Depth=1
                                        ;     Child Loop BB9_156 Depth 2
	s_ashr_i32 s3, s2, 31
	s_add_i32 s7, s2, -1
	s_lshl_b64 s[4:5], s[2:3], 3
	s_add_u32 s4, s58, s4
	s_addc_u32 s5, s59, s5
	global_load_dwordx2 v[0:1], v4, s[4:5] offset:-8
	s_mov_b64 s[8:9], s[0:1]
	s_mov_b32 s3, s2
	s_mov_b32 s6, s7
	s_waitcnt vmcnt(0)
	v_mov_b64_e32 v[2:3], v[0:1]
.LBB9_156:                              ;   Parent Loop BB9_155 Depth=1
                                        ; =>  This Inner Loop Header: Depth=2
	global_load_dwordx2 v[6:7], v4, s[8:9]
	s_waitcnt vmcnt(0)
	v_cmp_lt_f64_e32 vcc, v[6:7], v[2:3]
	s_and_b64 s[10:11], vcc, exec
	s_cselect_b32 s6, s3, s6
	s_add_i32 s3, s3, 1
	s_add_u32 s8, s8, 8
	s_addc_u32 s9, s9, 0
	v_cndmask_b32_e32 v3, v3, v7, vcc
	s_cmp_eq_u32 s33, s3
	v_cndmask_b32_e32 v2, v2, v6, vcc
	s_cbranch_scc0 .LBB9_156
; %bb.157:                              ;   in Loop: Header=BB9_155 Depth=1
	s_cmp_lg_u32 s6, s7
	s_cbranch_scc0 .LBB9_154
; %bb.158:                              ;   in Loop: Header=BB9_155 Depth=1
	s_ashr_i32 s7, s6, 31
	s_lshl_b64 s[6:7], s[6:7], 3
	s_add_u32 s6, s58, s6
	s_addc_u32 s7, s59, s7
	global_store_dwordx2 v4, v[0:1], s[6:7]
	global_store_dwordx2 v4, v[2:3], s[4:5] offset:-8
	s_branch .LBB9_154
.LBB9_159:
	s_endpgm
	.section	.rodata,"a",@progbits
	.p2align	6, 0x0
	.amdhsa_kernel _ZN9rocsolver6v33100L12sterf_kernelIdEEviPT_lS3_lPiS4_iS2_S2_S2_
		.amdhsa_group_segment_fixed_size 0
		.amdhsa_private_segment_fixed_size 0
		.amdhsa_kernarg_size 88
		.amdhsa_user_sgpr_count 2
		.amdhsa_user_sgpr_dispatch_ptr 0
		.amdhsa_user_sgpr_queue_ptr 0
		.amdhsa_user_sgpr_kernarg_segment_ptr 1
		.amdhsa_user_sgpr_dispatch_id 0
		.amdhsa_user_sgpr_kernarg_preload_length 0
		.amdhsa_user_sgpr_kernarg_preload_offset 0
		.amdhsa_user_sgpr_private_segment_size 0
		.amdhsa_uses_dynamic_stack 0
		.amdhsa_enable_private_segment 0
		.amdhsa_system_sgpr_workgroup_id_x 1
		.amdhsa_system_sgpr_workgroup_id_y 0
		.amdhsa_system_sgpr_workgroup_id_z 0
		.amdhsa_system_sgpr_workgroup_info 0
		.amdhsa_system_vgpr_workitem_id 0
		.amdhsa_next_free_vgpr 40
		.amdhsa_next_free_sgpr 74
		.amdhsa_accum_offset 40
		.amdhsa_reserve_vcc 1
		.amdhsa_float_round_mode_32 0
		.amdhsa_float_round_mode_16_64 0
		.amdhsa_float_denorm_mode_32 3
		.amdhsa_float_denorm_mode_16_64 3
		.amdhsa_dx10_clamp 1
		.amdhsa_ieee_mode 1
		.amdhsa_fp16_overflow 0
		.amdhsa_tg_split 0
		.amdhsa_exception_fp_ieee_invalid_op 0
		.amdhsa_exception_fp_denorm_src 0
		.amdhsa_exception_fp_ieee_div_zero 0
		.amdhsa_exception_fp_ieee_overflow 0
		.amdhsa_exception_fp_ieee_underflow 0
		.amdhsa_exception_fp_ieee_inexact 0
		.amdhsa_exception_int_div_zero 0
	.end_amdhsa_kernel
	.section	.text._ZN9rocsolver6v33100L12sterf_kernelIdEEviPT_lS3_lPiS4_iS2_S2_S2_,"axG",@progbits,_ZN9rocsolver6v33100L12sterf_kernelIdEEviPT_lS3_lPiS4_iS2_S2_S2_,comdat
.Lfunc_end9:
	.size	_ZN9rocsolver6v33100L12sterf_kernelIdEEviPT_lS3_lPiS4_iS2_S2_S2_, .Lfunc_end9-_ZN9rocsolver6v33100L12sterf_kernelIdEEviPT_lS3_lPiS4_iS2_S2_S2_
                                        ; -- End function
	.set _ZN9rocsolver6v33100L12sterf_kernelIdEEviPT_lS3_lPiS4_iS2_S2_S2_.num_vgpr, 40
	.set _ZN9rocsolver6v33100L12sterf_kernelIdEEviPT_lS3_lPiS4_iS2_S2_S2_.num_agpr, 0
	.set _ZN9rocsolver6v33100L12sterf_kernelIdEEviPT_lS3_lPiS4_iS2_S2_S2_.numbered_sgpr, 74
	.set _ZN9rocsolver6v33100L12sterf_kernelIdEEviPT_lS3_lPiS4_iS2_S2_S2_.num_named_barrier, 0
	.set _ZN9rocsolver6v33100L12sterf_kernelIdEEviPT_lS3_lPiS4_iS2_S2_S2_.private_seg_size, 0
	.set _ZN9rocsolver6v33100L12sterf_kernelIdEEviPT_lS3_lPiS4_iS2_S2_S2_.uses_vcc, 1
	.set _ZN9rocsolver6v33100L12sterf_kernelIdEEviPT_lS3_lPiS4_iS2_S2_S2_.uses_flat_scratch, 0
	.set _ZN9rocsolver6v33100L12sterf_kernelIdEEviPT_lS3_lPiS4_iS2_S2_S2_.has_dyn_sized_stack, 0
	.set _ZN9rocsolver6v33100L12sterf_kernelIdEEviPT_lS3_lPiS4_iS2_S2_S2_.has_recursion, 0
	.set _ZN9rocsolver6v33100L12sterf_kernelIdEEviPT_lS3_lPiS4_iS2_S2_S2_.has_indirect_call, 0
	.section	.AMDGPU.csdata,"",@progbits
; Kernel info:
; codeLenInByte = 8244
; TotalNumSgprs: 80
; NumVgprs: 40
; NumAgprs: 0
; TotalNumVgprs: 40
; ScratchSize: 0
; MemoryBound: 0
; FloatMode: 240
; IeeeMode: 1
; LDSByteSize: 0 bytes/workgroup (compile time only)
; SGPRBlocks: 9
; VGPRBlocks: 4
; NumSGPRsForWavesPerEU: 80
; NumVGPRsForWavesPerEU: 40
; AccumOffset: 40
; Occupancy: 8
; WaveLimiterHint : 0
; COMPUTE_PGM_RSRC2:SCRATCH_EN: 0
; COMPUTE_PGM_RSRC2:USER_SGPR: 2
; COMPUTE_PGM_RSRC2:TRAP_HANDLER: 0
; COMPUTE_PGM_RSRC2:TGID_X_EN: 1
; COMPUTE_PGM_RSRC2:TGID_Y_EN: 0
; COMPUTE_PGM_RSRC2:TGID_Z_EN: 0
; COMPUTE_PGM_RSRC2:TIDIG_COMP_CNT: 0
; COMPUTE_PGM_RSRC3_GFX90A:ACCUM_OFFSET: 9
; COMPUTE_PGM_RSRC3_GFX90A:TG_SPLIT: 0
	.section	.text._ZN9rocsolver6v33100L11lasr_kernelIddPdiEEv13rocblas_side_14rocblas_pivot_15rocblas_direct_T2_S6_PT0_lS8_lT1_lS6_lS6_,"axG",@progbits,_ZN9rocsolver6v33100L11lasr_kernelIddPdiEEv13rocblas_side_14rocblas_pivot_15rocblas_direct_T2_S6_PT0_lS8_lT1_lS6_lS6_,comdat
	.globl	_ZN9rocsolver6v33100L11lasr_kernelIddPdiEEv13rocblas_side_14rocblas_pivot_15rocblas_direct_T2_S6_PT0_lS8_lT1_lS6_lS6_ ; -- Begin function _ZN9rocsolver6v33100L11lasr_kernelIddPdiEEv13rocblas_side_14rocblas_pivot_15rocblas_direct_T2_S6_PT0_lS8_lT1_lS6_lS6_
	.p2align	8
	.type	_ZN9rocsolver6v33100L11lasr_kernelIddPdiEEv13rocblas_side_14rocblas_pivot_15rocblas_direct_T2_S6_PT0_lS8_lT1_lS6_lS6_,@function
_ZN9rocsolver6v33100L11lasr_kernelIddPdiEEv13rocblas_side_14rocblas_pivot_15rocblas_direct_T2_S6_PT0_lS8_lT1_lS6_lS6_: ; @_ZN9rocsolver6v33100L11lasr_kernelIddPdiEEv13rocblas_side_14rocblas_pivot_15rocblas_direct_T2_S6_PT0_lS8_lT1_lS6_lS6_
; %bb.0:
	s_load_dword s33, s[0:1], 0x58
	s_waitcnt lgkmcnt(0)
	s_cmp_ge_u32 s3, s33
	s_cbranch_scc1 .LBB10_108
; %bb.1:
	s_load_dwordx4 s[16:19], s[0:1], 0x38
	s_load_dword s20, s[0:1], 0x48
	s_load_dwordx2 s[22:23], s[0:1], 0x68
	s_load_dwordx4 s[4:7], s[0:1], 0x0
	s_load_dword s48, s[0:1], 0x10
	s_load_dwordx8 s[8:15], s[0:1], 0x18
	s_waitcnt lgkmcnt(0)
	s_ashr_i32 s21, s20, 31
	s_and_b32 s60, s23, 0xffff
	s_lshl_b64 s[72:73], s[18:19], 3
	s_add_u32 s18, s16, s72
	s_addc_u32 s19, s17, s73
	s_cmpk_eq_i32 s4, 0x8d
	s_cselect_b64 s[34:35], -1, 0
	s_cmpk_eq_i32 s4, 0x8e
	s_cselect_b64 s[42:43], -1, 0
	;; [unrolled: 2-line block ×7, first 2 shown]
	s_and_b64 s[30:31], s[34:35], s[4:5]
	s_and_b64 s[4:5], s[42:43], s[4:5]
	;; [unrolled: 1-line block ×3, first 2 shown]
	s_xor_b64 s[52:53], s[52:53], -1
                                        ; implicit-def: $vgpr48 : SGPR spill to VGPR lane
	s_and_b64 s[4:5], s[4:5], s[50:51]
	v_writelane_b32 v48, s52, 0
	s_xor_b64 s[4:5], s[4:5], -1
	s_and_b64 s[40:41], s[42:43], s[38:39]
	v_writelane_b32 v48, s53, 1
	v_writelane_b32 v48, s4, 2
	s_and_b64 s[42:43], s[42:43], s[44:45]
	s_mul_i32 s2, s2, s60
	v_writelane_b32 v48, s5, 3
	s_and_b64 s[4:5], s[42:43], s[46:47]
	s_xor_b64 s[4:5], s[4:5], -1
	v_add_u32_e32 v0, s2, v0
	v_writelane_b32 v48, s4, 4
	s_and_b64 s[26:27], s[34:35], s[38:39]
	s_and_b64 s[36:37], s[34:35], s[44:45]
	v_writelane_b32 v48, s5, 5
	v_cmp_gt_i32_e64 s[4:5], s7, v0
	s_and_b64 s[24:25], s[26:27], s[46:47]
	s_and_b64 s[26:27], s[26:27], s[50:51]
	;; [unrolled: 1-line block ×9, first 2 shown]
	s_xor_b64 s[24:25], s[24:25], -1
	s_xor_b64 s[26:27], s[26:27], -1
	;; [unrolled: 1-line block ×8, first 2 shown]
	s_and_b64 s[42:43], s[42:43], s[44:45]
	s_add_i32 s2, s48, -1
	s_add_i32 s50, s48, -2
	v_writelane_b32 v48, s42, 6
	s_cmp_gt_i32 s48, 1
	s_cselect_b64 s[52:53], -1, 0
	v_writelane_b32 v48, s43, 7
	s_ashr_i32 s55, s7, 31
	s_add_i32 s42, s7, -2
	s_cmp_gt_i32 s7, 1
	s_mov_b32 s51, 0
	s_cselect_b64 s[56:57], -1, 0
	s_lshl_b64 s[44:45], s[50:51], 3
	s_add_u32 s6, s8, s44
	s_addc_u32 s23, s9, s45
	s_lshl_b64 s[10:11], s[10:11], 3
	s_load_dword s54, s[0:1], 0x60
	s_load_dwordx2 s[58:59], s[0:1], 0x50
	s_add_u32 s49, s12, s44
	s_mul_i32 s43, s21, s50
	s_mul_hi_u32 s44, s20, s50
	s_addc_u32 s46, s13, s45
	s_add_i32 s45, s44, s43
	s_mul_i32 s44, s20, s50
	s_lshl_b64 s[14:15], s[14:15], 3
	s_lshl_b64 s[44:45], s[44:45], 3
	s_add_u32 s43, s44, s72
	s_addc_u32 s44, s45, s73
	s_add_u32 s0, s16, s43
	s_waitcnt lgkmcnt(0)
	s_mul_i32 s60, s54, s60
	s_addc_u32 s1, s17, s44
	s_ashr_i32 s61, s60, 31
	s_lshl_b64 s[62:63], s[58:59], 3
	s_lshl_b64 s[64:65], s[60:61], 3
	;; [unrolled: 1-line block ×3, first 2 shown]
	s_sub_u32 s68, 0, s66
	s_mul_i32 s21, s21, s2
	s_mul_hi_u32 s43, s20, s2
	s_mul_i32 s70, s20, s2
	s_subb_u32 s69, 0, s67
	s_add_i32 s45, s43, s21
	s_mov_b32 s44, s70
	s_lshl_b64 s[44:45], s[44:45], 3
	s_add_i32 s21, s48, 1
	s_add_u32 s43, s44, s72
	s_addc_u32 s44, s45, s73
	s_add_u32 s74, s16, s43
	s_addc_u32 s75, s17, s44
	v_mad_i64_i32 v[2:3], s[44:45], s20, v0, 0
	s_add_u32 s43, s72, s66
	s_addc_u32 s44, s73, s67
	s_add_u32 s76, s16, s43
	s_mov_b32 s43, s51
	s_addc_u32 s77, s17, s44
	s_add_i32 s50, s7, -1
	s_lshl_b64 s[42:43], s[42:43], 3
	s_add_u32 s47, s8, s42
	s_addc_u32 s61, s9, s43
	s_add_u32 s44, s12, s42
	s_addc_u32 s45, s13, s43
	;; [unrolled: 2-line block ×3, first 2 shown]
	s_mul_hi_i32 s43, s20, s60
	s_mul_i32 s42, s20, s60
	v_lshl_add_u64 v[12:13], v[2:3], 3, s[72:73]
	s_lshl_b64 s[72:73], s[42:43], 3
	s_add_i32 s42, s7, 1
	s_lshl_b64 s[80:81], s[50:51], 3
	s_add_u32 s80, s16, s80
	v_ashrrev_i32_e32 v1, 31, v0
	s_addc_u32 s81, s17, s81
	v_lshl_add_u64 v[2:3], s[16:17], 0, v[12:13]
	v_lshlrev_b64 v[14:15], 3, v[0:1]
	v_lshl_add_u64 v[10:11], s[78:79], 0, v[12:13]
	v_lshl_add_u64 v[4:5], s[0:1], 0, v[14:15]
	;; [unrolled: 1-line block ×5, first 2 shown]
	s_mul_hi_i32 s71, s20, s2
	s_mov_b32 s54, s7
	v_lshl_add_u64 v[14:15], s[18:19], 0, v[14:15]
	v_lshl_add_u64 v[16:17], v[2:3], 0, 8
	;; [unrolled: 1-line block ×3, first 2 shown]
	v_mov_b32_e32 v1, 0
	v_cmp_gt_i32_e64 s[0:1], s48, v0
	s_branch .LBB10_4
.LBB10_2:                               ;   in Loop: Header=BB10_4 Depth=1
	s_or_b64 exec, exec, s[78:79]
.LBB10_3:                               ;   in Loop: Header=BB10_4 Depth=1
	s_add_i32 s3, s3, s22
	s_cmp_ge_u32 s3, s33
	s_cbranch_scc1 .LBB10_108
.LBB10_4:                               ; =>This Loop Header: Depth=1
                                        ;     Child Loop BB10_19 Depth 2
                                        ;       Child Loop BB10_20 Depth 3
                                        ;     Child Loop BB10_26 Depth 2
                                        ;       Child Loop BB10_27 Depth 3
	;; [unrolled: 2-line block ×12, first 2 shown]
	v_mov_b32_e32 v20, s3
	v_mad_u64_u32 v[20:21], s[16:17], s62, v20, v[16:17]
	s_mul_i32 s16, s11, s3
	s_mul_hi_u32 s17, s10, s3
	s_add_i32 s43, s17, s16
	s_mul_i32 s51, s10, s3
	s_add_u32 s16, s8, s51
	s_mul_i32 s74, s15, s3
	s_mul_hi_u32 s75, s14, s3
	s_addc_u32 s17, s9, s43
	s_add_i32 s87, s75, s74
	s_mul_i32 s86, s14, s3
	s_add_u32 s74, s12, s86
	s_mul_i32 s76, s59, s3
	s_mul_hi_u32 s77, s58, s3
	s_addc_u32 s75, s13, s87
	s_add_i32 s77, s77, s76
	s_mul_i32 s76, s58, s3
	s_lshl_b64 s[76:77], s[76:77], 3
	s_mul_i32 s80, s63, s3
	s_add_u32 s76, s18, s76
	v_add_u32_e32 v21, s80, v21
	s_addc_u32 s77, s19, s77
	s_and_b64 vcc, exec, s[24:25]
	s_mov_b64 s[78:79], -1
	s_cbranch_vccnz .LBB10_6
; %bb.5:                                ;   in Loop: Header=BB10_4 Depth=1
	s_andn2_b64 vcc, exec, s[78:79]
	s_cbranch_vccnz .LBB10_3
	s_branch .LBB10_103
.LBB10_6:                               ;   in Loop: Header=BB10_4 Depth=1
	s_mul_hi_u32 s78, s62, s3
	s_add_i32 s83, s78, s80
	s_add_u32 s78, s47, s51
	s_addc_u32 s79, s61, s43
	s_add_u32 s80, s44, s86
	s_mul_i32 s82, s62, s3
	s_addc_u32 s81, s45, s87
	s_mov_b64 s[84:85], -1
	s_and_b64 vcc, exec, s[26:27]
	s_cbranch_vccz .LBB10_95
; %bb.7:                                ;   in Loop: Header=BB10_4 Depth=1
	s_and_b64 vcc, exec, s[28:29]
	s_cbranch_vccz .LBB10_87
; %bb.8:                                ;   in Loop: Header=BB10_4 Depth=1
	;; [unrolled: 3-line block ×3, first 2 shown]
	s_and_b64 vcc, exec, s[34:35]
	s_cbranch_vccz .LBB10_71
; %bb.10:                               ;   in Loop: Header=BB10_4 Depth=1
	s_and_b64 vcc, exec, s[36:37]
	s_cbranch_vccz .LBB10_63
; %bb.11:                               ;   in Loop: Header=BB10_4 Depth=1
	v_lshl_add_u64 v[22:23], v[14:15], 0, s[82:83]
	s_and_b64 vcc, exec, s[38:39]
	s_cbranch_vccz .LBB10_55
; %bb.12:                               ;   in Loop: Header=BB10_4 Depth=1
	s_add_u32 s84, s6, s51
	s_addc_u32 s85, s23, s43
	s_add_u32 s86, s49, s86
	v_lshl_add_u64 v[24:25], v[6:7], 0, s[82:83]
	s_addc_u32 s87, s46, s87
	v_lshl_add_u64 v[26:27], v[4:5], 0, s[82:83]
	s_mov_b64 s[88:89], -1
	s_and_b64 vcc, exec, s[40:41]
	s_cbranch_vccz .LBB10_46
; %bb.13:                               ;   in Loop: Header=BB10_4 Depth=1
	v_readlane_b32 s90, v48, 0
	v_readlane_b32 s91, v48, 1
	s_and_b64 vcc, exec, s[90:91]
	s_cbranch_vccz .LBB10_38
; %bb.14:                               ;   in Loop: Header=BB10_4 Depth=1
	v_readlane_b32 s90, v48, 2
	v_readlane_b32 s91, v48, 3
	;; [unrolled: 5-line block ×3, first 2 shown]
	s_and_b64 vcc, exec, s[90:91]
	s_cbranch_vccz .LBB10_22
; %bb.16:                               ;   in Loop: Header=BB10_4 Depth=1
	s_mov_b64 s[88:89], exec
	v_readlane_b32 s90, v48, 6
	v_readlane_b32 s91, v48, 7
	s_and_b64 s[90:91], s[88:89], s[90:91]
	s_mov_b64 exec, s[90:91]
	s_cbranch_execz .LBB10_21
; %bb.17:                               ;   in Loop: Header=BB10_4 Depth=1
	s_lshl_b64 s[90:91], s[70:71], 3
	s_add_u32 s90, s76, s90
	s_addc_u32 s91, s77, s91
	s_mov_b64 s[92:93], 0
	v_mov_b64_e32 v[28:29], v[26:27]
	v_mov_b32_e32 v30, v0
	s_branch .LBB10_19
.LBB10_18:                              ;   in Loop: Header=BB10_19 Depth=2
	v_add_u32_e32 v30, s60, v30
	v_cmp_le_i32_e32 vcc, s7, v30
	s_or_b64 s[92:93], vcc, s[92:93]
	v_lshl_add_u64 v[28:29], v[28:29], 0, s[64:65]
	s_waitcnt vmcnt(0)
	global_store_dwordx2 v[32:33], v[34:35], off
	s_andn2_b64 exec, exec, s[92:93]
	s_cbranch_execz .LBB10_21
.LBB10_19:                              ;   Parent Loop BB10_4 Depth=1
                                        ; =>  This Loop Header: Depth=2
                                        ;       Child Loop BB10_20 Depth 3
	v_ashrrev_i32_e32 v31, 31, v30
	v_lshl_add_u64 v[32:33], v[30:31], 3, s[90:91]
	global_load_dwordx2 v[34:35], v[32:33], off
	s_andn2_b64 vcc, exec, s[52:53]
	v_mov_b64_e32 v[36:37], v[28:29]
	s_mov_b64 s[94:95], s[86:87]
	s_mov_b64 s[96:97], s[84:85]
	s_mov_b32 s43, s2
	s_cbranch_vccnz .LBB10_18
.LBB10_20:                              ;   Parent Loop BB10_4 Depth=1
                                        ;     Parent Loop BB10_19 Depth=2
                                        ; =>    This Inner Loop Header: Depth=3
	global_load_dwordx2 v[38:39], v[36:37], off
	global_load_dwordx2 v[40:41], v1, s[96:97]
	global_load_dwordx2 v[42:43], v1, s[94:95]
	s_add_i32 s43, s43, -1
	s_add_u32 s96, s96, -8
	s_addc_u32 s97, s97, -1
	s_add_u32 s94, s94, -8
	s_addc_u32 s95, s95, -1
	s_cmp_eq_u32 s43, 0
	s_waitcnt vmcnt(1)
	v_mul_f64 v[44:45], v[40:41], v[38:39]
	s_waitcnt vmcnt(0)
	v_mul_f64 v[38:39], v[42:43], v[38:39]
	v_fmac_f64_e32 v[44:45], v[34:35], v[42:43]
	v_fma_f64 v[34:35], v[34:35], v[40:41], -v[38:39]
	global_store_dwordx2 v[36:37], v[44:45], off
	v_lshl_add_u64 v[36:37], v[36:37], 0, s[68:69]
	s_cbranch_scc0 .LBB10_20
	s_branch .LBB10_18
.LBB10_21:                              ;   in Loop: Header=BB10_4 Depth=1
	s_or_b64 exec, exec, s[88:89]
	s_mov_b64 s[88:89], 0
.LBB10_22:                              ;   in Loop: Header=BB10_4 Depth=1
	s_andn2_b64 vcc, exec, s[88:89]
	s_cbranch_vccnz .LBB10_29
; %bb.23:                               ;   in Loop: Header=BB10_4 Depth=1
	s_and_saveexec_b64 s[88:89], s[4:5]
	s_cbranch_execz .LBB10_28
; %bb.24:                               ;   in Loop: Header=BB10_4 Depth=1
	s_lshl_b64 s[90:91], s[70:71], 3
	s_add_u32 s90, s76, s90
	s_addc_u32 s91, s77, s91
	s_mov_b64 s[92:93], 0
	v_mov_b64_e32 v[28:29], v[22:23]
	v_mov_b32_e32 v30, v0
	s_branch .LBB10_26
.LBB10_25:                              ;   in Loop: Header=BB10_26 Depth=2
	v_add_u32_e32 v30, s60, v30
	v_cmp_le_i32_e32 vcc, s7, v30
	s_or_b64 s[92:93], vcc, s[92:93]
	v_lshl_add_u64 v[28:29], v[28:29], 0, s[64:65]
	s_waitcnt vmcnt(0)
	global_store_dwordx2 v[32:33], v[34:35], off
	s_andn2_b64 exec, exec, s[92:93]
	s_cbranch_execz .LBB10_28
.LBB10_26:                              ;   Parent Loop BB10_4 Depth=1
                                        ; =>  This Loop Header: Depth=2
                                        ;       Child Loop BB10_27 Depth 3
	v_ashrrev_i32_e32 v31, 31, v30
	v_lshl_add_u64 v[32:33], v[30:31], 3, s[90:91]
	global_load_dwordx2 v[34:35], v[32:33], off
	s_andn2_b64 vcc, exec, s[52:53]
	v_mov_b64_e32 v[36:37], v[28:29]
	s_mov_b64 s[94:95], s[74:75]
	s_mov_b64 s[96:97], s[16:17]
	s_mov_b32 s43, s2
	s_cbranch_vccnz .LBB10_25
.LBB10_27:                              ;   Parent Loop BB10_4 Depth=1
                                        ;     Parent Loop BB10_26 Depth=2
                                        ; =>    This Inner Loop Header: Depth=3
	global_load_dwordx2 v[38:39], v[36:37], off
	global_load_dwordx2 v[40:41], v1, s[96:97]
	global_load_dwordx2 v[42:43], v1, s[94:95]
	s_add_i32 s43, s43, -1
	s_add_u32 s96, s96, 8
	s_addc_u32 s97, s97, 0
	s_add_u32 s94, s94, 8
	s_addc_u32 s95, s95, 0
	s_cmp_eq_u32 s43, 0
	s_waitcnt vmcnt(1)
	v_mul_f64 v[44:45], v[40:41], v[38:39]
	s_waitcnt vmcnt(0)
	v_mul_f64 v[38:39], v[42:43], v[38:39]
	v_fmac_f64_e32 v[44:45], v[34:35], v[42:43]
	v_fma_f64 v[34:35], v[34:35], v[40:41], -v[38:39]
	global_store_dwordx2 v[36:37], v[44:45], off
	v_lshl_add_u64 v[36:37], v[36:37], 0, s[66:67]
	s_cbranch_scc0 .LBB10_27
	s_branch .LBB10_25
.LBB10_28:                              ;   in Loop: Header=BB10_4 Depth=1
	s_or_b64 exec, exec, s[88:89]
.LBB10_29:                              ;   in Loop: Header=BB10_4 Depth=1
	s_mov_b64 s[88:89], 0
.LBB10_30:                              ;   in Loop: Header=BB10_4 Depth=1
	s_andn2_b64 vcc, exec, s[88:89]
	s_cbranch_vccnz .LBB10_37
; %bb.31:                               ;   in Loop: Header=BB10_4 Depth=1
	s_and_saveexec_b64 s[88:89], s[4:5]
	s_cbranch_execz .LBB10_36
; %bb.32:                               ;   in Loop: Header=BB10_4 Depth=1
	s_mov_b64 s[90:91], 0
	v_mov_b64_e32 v[28:29], v[24:25]
	v_mov_b32_e32 v30, v0
	s_branch .LBB10_34
.LBB10_33:                              ;   in Loop: Header=BB10_34 Depth=2
	v_add_u32_e32 v30, s60, v30
	v_cmp_le_i32_e32 vcc, s7, v30
	s_or_b64 s[90:91], vcc, s[90:91]
	v_lshl_add_u64 v[28:29], v[28:29], 0, s[64:65]
	s_waitcnt vmcnt(0)
	global_store_dwordx2 v[32:33], v[36:37], off
	s_andn2_b64 exec, exec, s[90:91]
	s_cbranch_execz .LBB10_36
.LBB10_34:                              ;   Parent Loop BB10_4 Depth=1
                                        ; =>  This Loop Header: Depth=2
                                        ;       Child Loop BB10_35 Depth 3
	v_ashrrev_i32_e32 v31, 31, v30
	v_lshl_add_u64 v[32:33], v[30:31], 3, s[76:77]
	global_load_dwordx2 v[36:37], v[32:33], off
	s_andn2_b64 vcc, exec, s[52:53]
	v_mov_b64_e32 v[34:35], v[28:29]
	s_mov_b64 s[92:93], s[86:87]
	s_mov_b64 s[94:95], s[84:85]
	s_mov_b32 s43, s21
	s_cbranch_vccnz .LBB10_33
.LBB10_35:                              ;   Parent Loop BB10_4 Depth=1
                                        ;     Parent Loop BB10_34 Depth=2
                                        ; =>    This Inner Loop Header: Depth=3
	global_load_dwordx2 v[38:39], v1, s[92:93]
	global_load_dwordx2 v[40:41], v[34:35], off
	global_load_dwordx2 v[42:43], v1, s[94:95]
	s_add_i32 s43, s43, -1
	s_add_u32 s94, s94, -8
	s_waitcnt vmcnt(3)
	v_mov_b64_e32 v[44:45], v[36:37]
	s_addc_u32 s95, s95, -1
	s_add_u32 s92, s92, -8
	s_addc_u32 s93, s93, -1
	s_cmp_lt_u32 s43, 3
	s_waitcnt vmcnt(2)
	v_mul_f64 v[46:47], v[44:45], v[38:39]
	s_waitcnt vmcnt(1)
	v_mul_f64 v[36:37], v[38:39], v[40:41]
	s_waitcnt vmcnt(0)
	v_fma_f64 v[38:39], v[42:43], v[40:41], -v[46:47]
	v_fmac_f64_e32 v[36:37], v[44:45], v[42:43]
	global_store_dwordx2 v[34:35], v[38:39], off
	v_lshl_add_u64 v[34:35], v[34:35], 0, s[68:69]
	s_cbranch_scc0 .LBB10_35
	s_branch .LBB10_33
.LBB10_36:                              ;   in Loop: Header=BB10_4 Depth=1
	s_or_b64 exec, exec, s[88:89]
.LBB10_37:                              ;   in Loop: Header=BB10_4 Depth=1
	s_mov_b64 s[88:89], 0
.LBB10_38:                              ;   in Loop: Header=BB10_4 Depth=1
	s_andn2_b64 vcc, exec, s[88:89]
	s_cbranch_vccnz .LBB10_45
; %bb.39:                               ;   in Loop: Header=BB10_4 Depth=1
	s_and_saveexec_b64 s[88:89], s[4:5]
	s_cbranch_execz .LBB10_44
; %bb.40:                               ;   in Loop: Header=BB10_4 Depth=1
	v_lshl_add_u64 v[28:29], v[8:9], 0, s[82:83]
	s_mov_b64 s[90:91], 0
	v_mov_b32_e32 v30, v0
	s_branch .LBB10_42
.LBB10_41:                              ;   in Loop: Header=BB10_42 Depth=2
	v_add_u32_e32 v30, s60, v30
	v_cmp_le_i32_e32 vcc, s7, v30
	s_or_b64 s[90:91], vcc, s[90:91]
	v_lshl_add_u64 v[28:29], v[28:29], 0, s[64:65]
	s_waitcnt vmcnt(0)
	global_store_dwordx2 v[32:33], v[36:37], off
	s_andn2_b64 exec, exec, s[90:91]
	s_cbranch_execz .LBB10_44
.LBB10_42:                              ;   Parent Loop BB10_4 Depth=1
                                        ; =>  This Loop Header: Depth=2
                                        ;       Child Loop BB10_43 Depth 3
	v_ashrrev_i32_e32 v31, 31, v30
	v_lshl_add_u64 v[32:33], v[30:31], 3, s[76:77]
	global_load_dwordx2 v[36:37], v[32:33], off
	s_andn2_b64 vcc, exec, s[52:53]
	v_mov_b64_e32 v[34:35], v[28:29]
	s_mov_b32 s43, s2
	s_mov_b64 s[92:93], s[16:17]
	s_mov_b64 s[94:95], s[74:75]
	s_cbranch_vccnz .LBB10_41
.LBB10_43:                              ;   Parent Loop BB10_4 Depth=1
                                        ;     Parent Loop BB10_42 Depth=2
                                        ; =>    This Inner Loop Header: Depth=3
	global_load_dwordx2 v[38:39], v1, s[94:95]
	global_load_dwordx2 v[40:41], v[34:35], off
	global_load_dwordx2 v[42:43], v1, s[92:93]
	s_add_u32 s94, s94, 8
	s_waitcnt vmcnt(3)
	v_mov_b64_e32 v[44:45], v[36:37]
	s_addc_u32 s95, s95, 0
	s_add_u32 s92, s92, 8
	s_addc_u32 s93, s93, 0
	s_add_i32 s43, s43, -1
	s_cmp_eq_u32 s43, 0
	s_waitcnt vmcnt(2)
	v_mul_f64 v[46:47], v[44:45], v[38:39]
	s_waitcnt vmcnt(1)
	v_mul_f64 v[36:37], v[38:39], v[40:41]
	s_waitcnt vmcnt(0)
	v_fma_f64 v[38:39], v[42:43], v[40:41], -v[46:47]
	v_fmac_f64_e32 v[36:37], v[44:45], v[42:43]
	global_store_dwordx2 v[34:35], v[38:39], off
	v_lshl_add_u64 v[34:35], v[34:35], 0, s[66:67]
	s_cbranch_scc0 .LBB10_43
	s_branch .LBB10_41
.LBB10_44:                              ;   in Loop: Header=BB10_4 Depth=1
	s_or_b64 exec, exec, s[88:89]
.LBB10_45:                              ;   in Loop: Header=BB10_4 Depth=1
	s_mov_b64 s[88:89], 0
.LBB10_46:                              ;   in Loop: Header=BB10_4 Depth=1
	s_andn2_b64 vcc, exec, s[88:89]
	s_cbranch_vccnz .LBB10_54
; %bb.47:                               ;   in Loop: Header=BB10_4 Depth=1
	s_and_saveexec_b64 s[88:89], s[4:5]
	s_cbranch_execz .LBB10_53
; %bb.48:                               ;   in Loop: Header=BB10_4 Depth=1
	s_lshl_b64 s[90:91], s[70:71], 3
	s_add_u32 s90, s76, s90
	s_addc_u32 s91, s77, s91
	s_mov_b64 s[92:93], 0
	v_mov_b32_e32 v28, v0
	s_branch .LBB10_50
.LBB10_49:                              ;   in Loop: Header=BB10_50 Depth=2
	v_lshl_add_u64 v[32:33], v[28:29], 3, s[76:77]
	v_add_u32_e32 v28, s60, v28
	v_cmp_le_i32_e32 vcc, s7, v28
	v_lshl_add_u64 v[24:25], v[24:25], 0, s[64:65]
	s_or_b64 s[92:93], vcc, s[92:93]
	v_lshl_add_u64 v[26:27], v[26:27], 0, s[64:65]
	s_waitcnt vmcnt(0)
	global_store_dwordx2 v[32:33], v[30:31], off
	s_andn2_b64 exec, exec, s[92:93]
	s_cbranch_execz .LBB10_53
.LBB10_50:                              ;   Parent Loop BB10_4 Depth=1
                                        ; =>  This Loop Header: Depth=2
                                        ;       Child Loop BB10_52 Depth 3
	v_ashrrev_i32_e32 v29, 31, v28
	v_lshl_add_u64 v[30:31], v[28:29], 3, s[90:91]
	global_load_dwordx2 v[30:31], v[30:31], off
	s_andn2_b64 vcc, exec, s[52:53]
	s_cbranch_vccnz .LBB10_49
; %bb.51:                               ;   in Loop: Header=BB10_50 Depth=2
	s_mov_b64 s[94:95], 0
	s_mov_b64 s[96:97], s[86:87]
	;; [unrolled: 1-line block ×3, first 2 shown]
	s_mov_b32 s43, s2
.LBB10_52:                              ;   Parent Loop BB10_4 Depth=1
                                        ;     Parent Loop BB10_50 Depth=2
                                        ; =>    This Inner Loop Header: Depth=3
	v_lshl_add_u64 v[34:35], v[26:27], 0, s[94:95]
	global_load_dwordx2 v[32:33], v1, s[96:97]
	s_nop 0
	global_load_dwordx2 v[34:35], v[34:35], off
	s_nop 0
	global_load_dwordx2 v[36:37], v1, s[98:99]
	s_add_i32 s43, s43, -1
	v_lshl_add_u64 v[40:41], v[24:25], 0, s[94:95]
	s_sub_u32 s94, s94, s66
	s_subb_u32 s95, s95, s67
	s_add_u32 s98, s98, -8
	s_addc_u32 s99, s99, -1
	s_add_u32 s96, s96, -8
	s_waitcnt vmcnt(3)
	v_mov_b64_e32 v[38:39], v[30:31]
	s_addc_u32 s97, s97, -1
	s_cmp_eq_u32 s43, 0
	s_waitcnt vmcnt(1)
	v_mul_f64 v[42:43], v[32:33], v[34:35]
	s_waitcnt vmcnt(0)
	v_mul_f64 v[30:31], v[36:37], v[34:35]
	v_fma_f64 v[34:35], v[38:39], v[36:37], -v[42:43]
	v_fmac_f64_e32 v[30:31], v[38:39], v[32:33]
	global_store_dwordx2 v[40:41], v[34:35], off
	s_cbranch_scc0 .LBB10_52
	s_branch .LBB10_49
.LBB10_53:                              ;   in Loop: Header=BB10_4 Depth=1
	s_or_b64 exec, exec, s[88:89]
.LBB10_54:                              ;   in Loop: Header=BB10_4 Depth=1
	s_mov_b64 s[84:85], 0
.LBB10_55:                              ;   in Loop: Header=BB10_4 Depth=1
	s_andn2_b64 vcc, exec, s[84:85]
	s_cbranch_vccnz .LBB10_62
; %bb.56:                               ;   in Loop: Header=BB10_4 Depth=1
	s_and_saveexec_b64 s[84:85], s[4:5]
	s_cbranch_execz .LBB10_61
; %bb.57:                               ;   in Loop: Header=BB10_4 Depth=1
	s_lshl_b64 s[86:87], s[70:71], 3
	s_add_u32 s86, s76, s86
	s_addc_u32 s87, s77, s87
	s_mov_b64 s[88:89], 0
	v_mov_b32_e32 v24, v0
	s_branch .LBB10_59
.LBB10_58:                              ;   in Loop: Header=BB10_59 Depth=2
	v_lshl_add_u64 v[28:29], v[24:25], 3, s[86:87]
	v_add_u32_e32 v24, s60, v24
	v_cmp_le_i32_e32 vcc, s7, v24
	s_or_b64 s[88:89], vcc, s[88:89]
	v_lshl_add_u64 v[22:23], v[22:23], 0, s[64:65]
	s_waitcnt vmcnt(0)
	global_store_dwordx2 v[28:29], v[26:27], off
	s_andn2_b64 exec, exec, s[88:89]
	s_cbranch_execz .LBB10_61
.LBB10_59:                              ;   Parent Loop BB10_4 Depth=1
                                        ; =>  This Loop Header: Depth=2
                                        ;       Child Loop BB10_60 Depth 3
	v_ashrrev_i32_e32 v25, 31, v24
	v_lshl_add_u64 v[26:27], v[24:25], 3, s[76:77]
	global_load_dwordx2 v[26:27], v[26:27], off
	s_andn2_b64 vcc, exec, s[52:53]
	s_mov_b64 s[90:91], s[74:75]
	s_mov_b64 s[92:93], s[16:17]
	v_mov_b64_e32 v[28:29], v[22:23]
	s_mov_b32 s43, s2
	s_cbranch_vccnz .LBB10_58
.LBB10_60:                              ;   Parent Loop BB10_4 Depth=1
                                        ;     Parent Loop BB10_59 Depth=2
                                        ; =>    This Inner Loop Header: Depth=3
	global_load_dwordx2 v[30:31], v1, s[90:91]
	v_lshl_add_u64 v[32:33], v[28:29], 0, s[66:67]
	global_load_dwordx2 v[34:35], v[32:33], off
	global_load_dwordx2 v[36:37], v1, s[92:93]
	s_add_i32 s43, s43, -1
	s_add_u32 s92, s92, 8
	s_addc_u32 s93, s93, 0
	s_add_u32 s90, s90, 8
	s_addc_u32 s91, s91, 0
	s_cmp_eq_u32 s43, 0
	s_waitcnt vmcnt(2)
	v_mul_f64 v[38:39], v[26:27], v[30:31]
	s_waitcnt vmcnt(1)
	v_mul_f64 v[30:31], v[30:31], v[34:35]
	s_waitcnt vmcnt(0)
	v_fmac_f64_e32 v[30:31], v[26:27], v[36:37]
	v_fma_f64 v[26:27], v[36:37], v[34:35], -v[38:39]
	global_store_dwordx2 v[28:29], v[30:31], off
	v_mov_b64_e32 v[28:29], v[32:33]
	s_cbranch_scc0 .LBB10_60
	s_branch .LBB10_58
.LBB10_61:                              ;   in Loop: Header=BB10_4 Depth=1
	s_or_b64 exec, exec, s[84:85]
.LBB10_62:                              ;   in Loop: Header=BB10_4 Depth=1
	s_mov_b64 s[84:85], 0
.LBB10_63:                              ;   in Loop: Header=BB10_4 Depth=1
	s_andn2_b64 vcc, exec, s[84:85]
	s_cbranch_vccnz .LBB10_70
; %bb.64:                               ;   in Loop: Header=BB10_4 Depth=1
	s_and_saveexec_b64 s[84:85], s[0:1]
	s_cbranch_execz .LBB10_69
; %bb.65:                               ;   in Loop: Header=BB10_4 Depth=1
	s_lshl_b64 s[86:87], s[54:55], 3
	s_add_u32 s86, s76, s86
	v_lshl_add_u64 v[22:23], v[10:11], 0, s[82:83]
	s_addc_u32 s87, s77, s87
	s_mov_b64 s[88:89], 0
	v_mov_b32_e32 v30, v0
	s_branch .LBB10_67
.LBB10_66:                              ;   in Loop: Header=BB10_67 Depth=2
	v_add_u32_e32 v30, s60, v30
	v_cmp_le_i32_e32 vcc, s48, v30
	s_or_b64 s[88:89], vcc, s[88:89]
	v_lshl_add_u64 v[22:23], v[22:23], 0, s[72:73]
	s_waitcnt vmcnt(0)
	global_store_dwordx2 v[24:25], v[26:27], off offset:-8
	s_andn2_b64 exec, exec, s[88:89]
	s_cbranch_execz .LBB10_69
.LBB10_67:                              ;   Parent Loop BB10_4 Depth=1
                                        ; =>  This Loop Header: Depth=2
                                        ;       Child Loop BB10_68 Depth 3
	v_mad_i64_i32 v[24:25], s[90:91], v30, s20, 0
	v_lshl_add_u64 v[24:25], v[24:25], 3, s[86:87]
	global_load_dwordx2 v[26:27], v[24:25], off offset:-8
	s_andn2_b64 vcc, exec, s[56:57]
	v_mov_b64_e32 v[28:29], v[22:23]
	s_mov_b64 s[90:91], s[80:81]
	s_mov_b64 s[92:93], s[78:79]
	s_mov_b32 s43, s50
	s_cbranch_vccnz .LBB10_66
.LBB10_68:                              ;   Parent Loop BB10_4 Depth=1
                                        ;     Parent Loop BB10_67 Depth=2
                                        ; =>    This Inner Loop Header: Depth=3
	global_load_dwordx2 v[32:33], v[28:29], off
	global_load_dwordx2 v[34:35], v1, s[92:93]
	global_load_dwordx2 v[36:37], v1, s[90:91]
	s_add_i32 s43, s43, -1
	s_add_u32 s92, s92, -8
	s_addc_u32 s93, s93, -1
	s_add_u32 s90, s90, -8
	s_addc_u32 s91, s91, -1
	s_cmp_eq_u32 s43, 0
	s_waitcnt vmcnt(1)
	v_mul_f64 v[38:39], v[34:35], v[32:33]
	s_waitcnt vmcnt(0)
	v_mul_f64 v[32:33], v[36:37], v[32:33]
	v_fmac_f64_e32 v[38:39], v[26:27], v[36:37]
	v_fma_f64 v[26:27], v[26:27], v[34:35], -v[32:33]
	global_store_dwordx2 v[28:29], v[38:39], off
	v_lshl_add_u64 v[28:29], v[28:29], 0, -8
	s_cbranch_scc0 .LBB10_68
	s_branch .LBB10_66
.LBB10_69:                              ;   in Loop: Header=BB10_4 Depth=1
	s_or_b64 exec, exec, s[84:85]
.LBB10_70:                              ;   in Loop: Header=BB10_4 Depth=1
	s_mov_b64 s[84:85], 0
.LBB10_71:                              ;   in Loop: Header=BB10_4 Depth=1
	s_andn2_b64 vcc, exec, s[84:85]
	s_cbranch_vccnz .LBB10_78
; %bb.72:                               ;   in Loop: Header=BB10_4 Depth=1
	s_and_saveexec_b64 s[84:85], s[0:1]
	s_cbranch_execz .LBB10_77
; %bb.73:                               ;   in Loop: Header=BB10_4 Depth=1
	s_lshl_b64 s[86:87], s[54:55], 3
	s_add_u32 s86, s76, s86
	v_lshl_add_u64 v[22:23], v[2:3], 0, s[82:83]
	s_addc_u32 s87, s77, s87
	s_mov_b64 s[88:89], 0
	v_mov_b32_e32 v30, v0
	s_branch .LBB10_75
.LBB10_74:                              ;   in Loop: Header=BB10_75 Depth=2
	v_add_u32_e32 v30, s60, v30
	v_cmp_le_i32_e32 vcc, s48, v30
	s_or_b64 s[88:89], vcc, s[88:89]
	v_lshl_add_u64 v[22:23], v[22:23], 0, s[72:73]
	s_waitcnt vmcnt(0)
	global_store_dwordx2 v[24:25], v[26:27], off offset:-8
	s_andn2_b64 exec, exec, s[88:89]
	s_cbranch_execz .LBB10_77
.LBB10_75:                              ;   Parent Loop BB10_4 Depth=1
                                        ; =>  This Loop Header: Depth=2
                                        ;       Child Loop BB10_76 Depth 3
	v_mad_i64_i32 v[24:25], s[90:91], v30, s20, 0
	v_lshl_add_u64 v[24:25], v[24:25], 3, s[86:87]
	global_load_dwordx2 v[26:27], v[24:25], off offset:-8
	s_andn2_b64 vcc, exec, s[56:57]
	v_mov_b64_e32 v[28:29], v[22:23]
	s_mov_b64 s[90:91], s[74:75]
	s_mov_b64 s[92:93], s[16:17]
	s_mov_b32 s43, s50
	s_cbranch_vccnz .LBB10_74
.LBB10_76:                              ;   Parent Loop BB10_4 Depth=1
                                        ;     Parent Loop BB10_75 Depth=2
                                        ; =>    This Inner Loop Header: Depth=3
	global_load_dwordx2 v[32:33], v[28:29], off
	global_load_dwordx2 v[34:35], v1, s[92:93]
	global_load_dwordx2 v[36:37], v1, s[90:91]
	s_add_i32 s43, s43, -1
	s_add_u32 s92, s92, 8
	s_addc_u32 s93, s93, 0
	s_add_u32 s90, s90, 8
	s_addc_u32 s91, s91, 0
	s_cmp_eq_u32 s43, 0
	s_waitcnt vmcnt(1)
	v_mul_f64 v[38:39], v[34:35], v[32:33]
	s_waitcnt vmcnt(0)
	v_mul_f64 v[32:33], v[36:37], v[32:33]
	v_fmac_f64_e32 v[38:39], v[26:27], v[36:37]
	v_fma_f64 v[26:27], v[26:27], v[34:35], -v[32:33]
	global_store_dwordx2 v[28:29], v[38:39], off
	v_lshl_add_u64 v[28:29], v[28:29], 0, 8
	s_cbranch_scc0 .LBB10_76
	s_branch .LBB10_74
.LBB10_77:                              ;   in Loop: Header=BB10_4 Depth=1
	s_or_b64 exec, exec, s[84:85]
.LBB10_78:                              ;   in Loop: Header=BB10_4 Depth=1
	s_mov_b64 s[84:85], 0
.LBB10_79:                              ;   in Loop: Header=BB10_4 Depth=1
	s_andn2_b64 vcc, exec, s[84:85]
	s_cbranch_vccnz .LBB10_86
; %bb.80:                               ;   in Loop: Header=BB10_4 Depth=1
	s_and_saveexec_b64 s[84:85], s[0:1]
	s_cbranch_execz .LBB10_85
; %bb.81:                               ;   in Loop: Header=BB10_4 Depth=1
	v_lshl_add_u64 v[22:23], v[12:13], 0, s[82:83]
	s_mov_b64 s[86:87], 0
	v_mov_b32_e32 v30, v0
	s_branch .LBB10_83
.LBB10_82:                              ;   in Loop: Header=BB10_83 Depth=2
	v_add_u32_e32 v30, s60, v30
	v_cmp_le_i32_e32 vcc, s48, v30
	s_or_b64 s[86:87], vcc, s[86:87]
	v_lshl_add_u64 v[22:23], v[22:23], 0, s[72:73]
	s_waitcnt vmcnt(0)
	global_store_dwordx2 v[24:25], v[28:29], off
	s_andn2_b64 exec, exec, s[86:87]
	s_cbranch_execz .LBB10_85
.LBB10_83:                              ;   Parent Loop BB10_4 Depth=1
                                        ; =>  This Loop Header: Depth=2
                                        ;       Child Loop BB10_84 Depth 3
	v_mad_i64_i32 v[24:25], s[88:89], v30, s20, 0
	v_lshl_add_u64 v[24:25], v[24:25], 3, s[76:77]
	global_load_dwordx2 v[28:29], v[24:25], off
	s_andn2_b64 vcc, exec, s[56:57]
	v_mov_b64_e32 v[26:27], v[22:23]
	s_mov_b64 s[88:89], s[80:81]
	s_mov_b64 s[90:91], s[78:79]
	s_mov_b32 s43, s42
	s_cbranch_vccnz .LBB10_82
.LBB10_84:                              ;   Parent Loop BB10_4 Depth=1
                                        ;     Parent Loop BB10_83 Depth=2
                                        ; =>    This Inner Loop Header: Depth=3
	global_load_dwordx2 v[32:33], v1, s[88:89]
	global_load_dwordx2 v[34:35], v[26:27], off
	global_load_dwordx2 v[36:37], v1, s[90:91]
	s_add_i32 s43, s43, -1
	s_add_u32 s90, s90, -8
	s_waitcnt vmcnt(3)
	v_mov_b64_e32 v[38:39], v[28:29]
	s_addc_u32 s91, s91, -1
	s_add_u32 s88, s88, -8
	s_addc_u32 s89, s89, -1
	s_cmp_lt_u32 s43, 3
	s_waitcnt vmcnt(2)
	v_mul_f64 v[40:41], v[38:39], v[32:33]
	s_waitcnt vmcnt(1)
	v_mul_f64 v[28:29], v[32:33], v[34:35]
	s_waitcnt vmcnt(0)
	v_fma_f64 v[32:33], v[36:37], v[34:35], -v[40:41]
	v_fmac_f64_e32 v[28:29], v[38:39], v[36:37]
	global_store_dwordx2 v[26:27], v[32:33], off
	v_lshl_add_u64 v[26:27], v[26:27], 0, -8
	s_cbranch_scc0 .LBB10_84
	s_branch .LBB10_82
.LBB10_85:                              ;   in Loop: Header=BB10_4 Depth=1
	s_or_b64 exec, exec, s[84:85]
.LBB10_86:                              ;   in Loop: Header=BB10_4 Depth=1
	s_mov_b64 s[84:85], 0
.LBB10_87:                              ;   in Loop: Header=BB10_4 Depth=1
	s_andn2_b64 vcc, exec, s[84:85]
	s_cbranch_vccnz .LBB10_94
; %bb.88:                               ;   in Loop: Header=BB10_4 Depth=1
	s_and_saveexec_b64 s[84:85], s[0:1]
	s_cbranch_execz .LBB10_93
; %bb.89:                               ;   in Loop: Header=BB10_4 Depth=1
	s_mov_b64 s[86:87], 0
	v_mov_b64_e32 v[22:23], v[20:21]
	v_mov_b32_e32 v30, v0
	s_branch .LBB10_91
.LBB10_90:                              ;   in Loop: Header=BB10_91 Depth=2
	v_add_u32_e32 v30, s60, v30
	v_cmp_le_i32_e32 vcc, s48, v30
	s_or_b64 s[86:87], vcc, s[86:87]
	v_lshl_add_u64 v[22:23], v[22:23], 0, s[72:73]
	s_waitcnt vmcnt(0)
	global_store_dwordx2 v[24:25], v[28:29], off
	s_andn2_b64 exec, exec, s[86:87]
	s_cbranch_execz .LBB10_93
.LBB10_91:                              ;   Parent Loop BB10_4 Depth=1
                                        ; =>  This Loop Header: Depth=2
                                        ;       Child Loop BB10_92 Depth 3
	v_mad_i64_i32 v[24:25], s[88:89], v30, s20, 0
	v_lshl_add_u64 v[24:25], v[24:25], 3, s[76:77]
	global_load_dwordx2 v[28:29], v[24:25], off
	s_andn2_b64 vcc, exec, s[56:57]
	v_mov_b64_e32 v[26:27], v[22:23]
	s_mov_b32 s43, s50
	s_mov_b64 s[88:89], s[16:17]
	s_mov_b64 s[90:91], s[74:75]
	s_cbranch_vccnz .LBB10_90
.LBB10_92:                              ;   Parent Loop BB10_4 Depth=1
                                        ;     Parent Loop BB10_91 Depth=2
                                        ; =>    This Inner Loop Header: Depth=3
	global_load_dwordx2 v[32:33], v1, s[90:91]
	global_load_dwordx2 v[34:35], v[26:27], off
	global_load_dwordx2 v[36:37], v1, s[88:89]
	s_add_u32 s90, s90, 8
	s_waitcnt vmcnt(3)
	v_mov_b64_e32 v[38:39], v[28:29]
	s_addc_u32 s91, s91, 0
	s_add_u32 s88, s88, 8
	s_addc_u32 s89, s89, 0
	s_add_i32 s43, s43, -1
	s_cmp_eq_u32 s43, 0
	s_waitcnt vmcnt(2)
	v_mul_f64 v[40:41], v[38:39], v[32:33]
	s_waitcnt vmcnt(1)
	v_mul_f64 v[28:29], v[32:33], v[34:35]
	s_waitcnt vmcnt(0)
	v_fma_f64 v[32:33], v[36:37], v[34:35], -v[40:41]
	v_fmac_f64_e32 v[28:29], v[38:39], v[36:37]
	global_store_dwordx2 v[26:27], v[32:33], off
	v_lshl_add_u64 v[26:27], v[26:27], 0, 8
	s_cbranch_scc0 .LBB10_92
	s_branch .LBB10_90
.LBB10_93:                              ;   in Loop: Header=BB10_4 Depth=1
	s_or_b64 exec, exec, s[84:85]
.LBB10_94:                              ;   in Loop: Header=BB10_4 Depth=1
	s_mov_b64 s[84:85], 0
.LBB10_95:                              ;   in Loop: Header=BB10_4 Depth=1
	s_andn2_b64 vcc, exec, s[84:85]
	s_cbranch_vccnz .LBB10_102
; %bb.96:                               ;   in Loop: Header=BB10_4 Depth=1
	s_and_saveexec_b64 s[84:85], s[0:1]
	s_cbranch_execz .LBB10_101
; %bb.97:                               ;   in Loop: Header=BB10_4 Depth=1
	v_lshl_add_u64 v[22:23], v[18:19], 0, s[82:83]
	s_lshl_b64 s[82:83], s[54:55], 3
	s_add_u32 s82, s76, s82
	s_addc_u32 s83, s77, s83
	s_mov_b64 s[86:87], 0
	v_mov_b32_e32 v30, v0
	s_branch .LBB10_99
.LBB10_98:                              ;   in Loop: Header=BB10_99 Depth=2
	v_add_u32_e32 v30, s60, v30
	v_cmp_le_i32_e32 vcc, s48, v30
	v_lshl_add_u64 v[24:25], v[24:25], 3, s[76:77]
	s_or_b64 s[86:87], vcc, s[86:87]
	v_lshl_add_u64 v[22:23], v[22:23], 0, s[72:73]
	s_waitcnt vmcnt(0)
	global_store_dwordx2 v[24:25], v[28:29], off
	s_andn2_b64 exec, exec, s[86:87]
	s_cbranch_execz .LBB10_101
.LBB10_99:                              ;   Parent Loop BB10_4 Depth=1
                                        ; =>  This Loop Header: Depth=2
                                        ;       Child Loop BB10_100 Depth 3
	v_mad_i64_i32 v[24:25], s[88:89], v30, s20, 0
	v_lshl_add_u64 v[26:27], v[24:25], 3, s[82:83]
	global_load_dwordx2 v[28:29], v[26:27], off offset:-8
	s_andn2_b64 vcc, exec, s[56:57]
	v_mov_b64_e32 v[26:27], v[22:23]
	s_mov_b64 s[88:89], s[80:81]
	s_mov_b64 s[90:91], s[78:79]
	s_mov_b32 s43, s50
	s_cbranch_vccnz .LBB10_98
.LBB10_100:                             ;   Parent Loop BB10_4 Depth=1
                                        ;     Parent Loop BB10_99 Depth=2
                                        ; =>    This Inner Loop Header: Depth=3
	global_load_dwordx2 v[32:33], v[26:27], off offset:-8
	global_load_dwordx2 v[34:35], v1, s[88:89]
	global_load_dwordx2 v[36:37], v1, s[90:91]
	s_add_i32 s43, s43, -1
	s_add_u32 s90, s90, -8
	s_addc_u32 s91, s91, -1
	s_waitcnt vmcnt(3)
	v_mov_b64_e32 v[40:41], v[28:29]
	s_add_u32 s88, s88, -8
	v_lshl_add_u64 v[38:39], v[26:27], 0, -8
	s_addc_u32 s89, s89, -1
	s_cmp_eq_u32 s43, 0
	s_waitcnt vmcnt(1)
	v_mul_f64 v[42:43], v[34:35], v[32:33]
	s_waitcnt vmcnt(0)
	v_mul_f64 v[28:29], v[36:37], v[32:33]
	v_fma_f64 v[32:33], v[40:41], v[36:37], -v[42:43]
	v_fmac_f64_e32 v[28:29], v[40:41], v[34:35]
	global_store_dwordx2 v[26:27], v[32:33], off
	v_mov_b64_e32 v[26:27], v[38:39]
	s_cbranch_scc0 .LBB10_100
	s_branch .LBB10_98
.LBB10_101:                             ;   in Loop: Header=BB10_4 Depth=1
	s_or_b64 exec, exec, s[84:85]
.LBB10_102:                             ;   in Loop: Header=BB10_4 Depth=1
	s_cbranch_execnz .LBB10_3
.LBB10_103:                             ;   in Loop: Header=BB10_4 Depth=1
	s_and_saveexec_b64 s[78:79], s[0:1]
	s_cbranch_execz .LBB10_2
; %bb.104:                              ;   in Loop: Header=BB10_4 Depth=1
	s_lshl_b64 s[80:81], s[54:55], 3
	s_add_u32 s80, s76, s80
	s_addc_u32 s81, s77, s81
	s_mov_b64 s[82:83], 0
	v_mov_b32_e32 v28, v0
	s_branch .LBB10_106
.LBB10_105:                             ;   in Loop: Header=BB10_106 Depth=2
	v_add_u32_e32 v28, s60, v28
	v_cmp_le_i32_e32 vcc, s48, v28
	v_lshl_add_u64 v[22:23], v[22:23], 3, s[80:81]
	s_or_b64 s[82:83], vcc, s[82:83]
	v_lshl_add_u64 v[20:21], v[20:21], 0, s[72:73]
	s_waitcnt vmcnt(0)
	global_store_dwordx2 v[22:23], v[24:25], off offset:-8
	s_andn2_b64 exec, exec, s[82:83]
	s_cbranch_execz .LBB10_2
.LBB10_106:                             ;   Parent Loop BB10_4 Depth=1
                                        ; =>  This Loop Header: Depth=2
                                        ;       Child Loop BB10_107 Depth 3
	v_mad_i64_i32 v[22:23], s[84:85], v28, s20, 0
	v_lshl_add_u64 v[24:25], v[22:23], 3, s[76:77]
	global_load_dwordx2 v[24:25], v[24:25], off
	s_andn2_b64 vcc, exec, s[56:57]
	s_mov_b64 s[84:85], s[74:75]
	s_mov_b64 s[86:87], s[16:17]
	v_mov_b64_e32 v[26:27], v[20:21]
	s_mov_b32 s43, s50
	s_cbranch_vccnz .LBB10_105
.LBB10_107:                             ;   Parent Loop BB10_4 Depth=1
                                        ;     Parent Loop BB10_106 Depth=2
                                        ; =>    This Inner Loop Header: Depth=3
	global_load_dwordx2 v[30:31], v[26:27], off
	global_load_dwordx2 v[32:33], v1, s[84:85]
	global_load_dwordx2 v[34:35], v1, s[86:87]
	s_add_i32 s43, s43, -1
	s_add_u32 s86, s86, 8
	s_addc_u32 s87, s87, 0
	s_add_u32 s84, s84, 8
	s_addc_u32 s85, s85, 0
	s_cmp_eq_u32 s43, 0
	s_waitcnt vmcnt(1)
	v_mul_f64 v[36:37], v[32:33], v[30:31]
	v_mul_f64 v[32:33], v[24:25], v[32:33]
	s_waitcnt vmcnt(0)
	v_fmac_f64_e32 v[36:37], v[24:25], v[34:35]
	v_fma_f64 v[24:25], v[34:35], v[30:31], -v[32:33]
	global_store_dwordx2 v[26:27], v[36:37], off offset:-8
	v_lshl_add_u64 v[26:27], v[26:27], 0, 8
	s_cbranch_scc0 .LBB10_107
	s_branch .LBB10_105
.LBB10_108:
	s_endpgm
	.section	.rodata,"a",@progbits
	.p2align	6, 0x0
	.amdhsa_kernel _ZN9rocsolver6v33100L11lasr_kernelIddPdiEEv13rocblas_side_14rocblas_pivot_15rocblas_direct_T2_S6_PT0_lS8_lT1_lS6_lS6_
		.amdhsa_group_segment_fixed_size 0
		.amdhsa_private_segment_fixed_size 0
		.amdhsa_kernarg_size 352
		.amdhsa_user_sgpr_count 2
		.amdhsa_user_sgpr_dispatch_ptr 0
		.amdhsa_user_sgpr_queue_ptr 0
		.amdhsa_user_sgpr_kernarg_segment_ptr 1
		.amdhsa_user_sgpr_dispatch_id 0
		.amdhsa_user_sgpr_kernarg_preload_length 0
		.amdhsa_user_sgpr_kernarg_preload_offset 0
		.amdhsa_user_sgpr_private_segment_size 0
		.amdhsa_uses_dynamic_stack 0
		.amdhsa_enable_private_segment 0
		.amdhsa_system_sgpr_workgroup_id_x 1
		.amdhsa_system_sgpr_workgroup_id_y 0
		.amdhsa_system_sgpr_workgroup_id_z 1
		.amdhsa_system_sgpr_workgroup_info 0
		.amdhsa_system_vgpr_workitem_id 0
		.amdhsa_next_free_vgpr 49
		.amdhsa_next_free_sgpr 100
		.amdhsa_accum_offset 52
		.amdhsa_reserve_vcc 1
		.amdhsa_float_round_mode_32 0
		.amdhsa_float_round_mode_16_64 0
		.amdhsa_float_denorm_mode_32 3
		.amdhsa_float_denorm_mode_16_64 3
		.amdhsa_dx10_clamp 1
		.amdhsa_ieee_mode 1
		.amdhsa_fp16_overflow 0
		.amdhsa_tg_split 0
		.amdhsa_exception_fp_ieee_invalid_op 0
		.amdhsa_exception_fp_denorm_src 0
		.amdhsa_exception_fp_ieee_div_zero 0
		.amdhsa_exception_fp_ieee_overflow 0
		.amdhsa_exception_fp_ieee_underflow 0
		.amdhsa_exception_fp_ieee_inexact 0
		.amdhsa_exception_int_div_zero 0
	.end_amdhsa_kernel
	.section	.text._ZN9rocsolver6v33100L11lasr_kernelIddPdiEEv13rocblas_side_14rocblas_pivot_15rocblas_direct_T2_S6_PT0_lS8_lT1_lS6_lS6_,"axG",@progbits,_ZN9rocsolver6v33100L11lasr_kernelIddPdiEEv13rocblas_side_14rocblas_pivot_15rocblas_direct_T2_S6_PT0_lS8_lT1_lS6_lS6_,comdat
.Lfunc_end10:
	.size	_ZN9rocsolver6v33100L11lasr_kernelIddPdiEEv13rocblas_side_14rocblas_pivot_15rocblas_direct_T2_S6_PT0_lS8_lT1_lS6_lS6_, .Lfunc_end10-_ZN9rocsolver6v33100L11lasr_kernelIddPdiEEv13rocblas_side_14rocblas_pivot_15rocblas_direct_T2_S6_PT0_lS8_lT1_lS6_lS6_
                                        ; -- End function
	.set _ZN9rocsolver6v33100L11lasr_kernelIddPdiEEv13rocblas_side_14rocblas_pivot_15rocblas_direct_T2_S6_PT0_lS8_lT1_lS6_lS6_.num_vgpr, 49
	.set _ZN9rocsolver6v33100L11lasr_kernelIddPdiEEv13rocblas_side_14rocblas_pivot_15rocblas_direct_T2_S6_PT0_lS8_lT1_lS6_lS6_.num_agpr, 0
	.set _ZN9rocsolver6v33100L11lasr_kernelIddPdiEEv13rocblas_side_14rocblas_pivot_15rocblas_direct_T2_S6_PT0_lS8_lT1_lS6_lS6_.numbered_sgpr, 100
	.set _ZN9rocsolver6v33100L11lasr_kernelIddPdiEEv13rocblas_side_14rocblas_pivot_15rocblas_direct_T2_S6_PT0_lS8_lT1_lS6_lS6_.num_named_barrier, 0
	.set _ZN9rocsolver6v33100L11lasr_kernelIddPdiEEv13rocblas_side_14rocblas_pivot_15rocblas_direct_T2_S6_PT0_lS8_lT1_lS6_lS6_.private_seg_size, 0
	.set _ZN9rocsolver6v33100L11lasr_kernelIddPdiEEv13rocblas_side_14rocblas_pivot_15rocblas_direct_T2_S6_PT0_lS8_lT1_lS6_lS6_.uses_vcc, 1
	.set _ZN9rocsolver6v33100L11lasr_kernelIddPdiEEv13rocblas_side_14rocblas_pivot_15rocblas_direct_T2_S6_PT0_lS8_lT1_lS6_lS6_.uses_flat_scratch, 0
	.set _ZN9rocsolver6v33100L11lasr_kernelIddPdiEEv13rocblas_side_14rocblas_pivot_15rocblas_direct_T2_S6_PT0_lS8_lT1_lS6_lS6_.has_dyn_sized_stack, 0
	.set _ZN9rocsolver6v33100L11lasr_kernelIddPdiEEv13rocblas_side_14rocblas_pivot_15rocblas_direct_T2_S6_PT0_lS8_lT1_lS6_lS6_.has_recursion, 0
	.set _ZN9rocsolver6v33100L11lasr_kernelIddPdiEEv13rocblas_side_14rocblas_pivot_15rocblas_direct_T2_S6_PT0_lS8_lT1_lS6_lS6_.has_indirect_call, 0
	.section	.AMDGPU.csdata,"",@progbits
; Kernel info:
; codeLenInByte = 4144
; TotalNumSgprs: 106
; NumVgprs: 49
; NumAgprs: 0
; TotalNumVgprs: 49
; ScratchSize: 0
; MemoryBound: 0
; FloatMode: 240
; IeeeMode: 1
; LDSByteSize: 0 bytes/workgroup (compile time only)
; SGPRBlocks: 13
; VGPRBlocks: 6
; NumSGPRsForWavesPerEU: 106
; NumVGPRsForWavesPerEU: 49
; AccumOffset: 52
; Occupancy: 7
; WaveLimiterHint : 0
; COMPUTE_PGM_RSRC2:SCRATCH_EN: 0
; COMPUTE_PGM_RSRC2:USER_SGPR: 2
; COMPUTE_PGM_RSRC2:TRAP_HANDLER: 0
; COMPUTE_PGM_RSRC2:TGID_X_EN: 1
; COMPUTE_PGM_RSRC2:TGID_Y_EN: 0
; COMPUTE_PGM_RSRC2:TGID_Z_EN: 1
; COMPUTE_PGM_RSRC2:TIDIG_COMP_CNT: 0
; COMPUTE_PGM_RSRC3_GFX90A:ACCUM_OFFSET: 12
; COMPUTE_PGM_RSRC3_GFX90A:TG_SPLIT: 0
	.section	.text._ZN9rocsolver6v33100L11swap_kernelIdiEEvT0_PT_S2_S4_S2_,"axG",@progbits,_ZN9rocsolver6v33100L11swap_kernelIdiEEvT0_PT_S2_S4_S2_,comdat
	.globl	_ZN9rocsolver6v33100L11swap_kernelIdiEEvT0_PT_S2_S4_S2_ ; -- Begin function _ZN9rocsolver6v33100L11swap_kernelIdiEEvT0_PT_S2_S4_S2_
	.p2align	8
	.type	_ZN9rocsolver6v33100L11swap_kernelIdiEEvT0_PT_S2_S4_S2_,@function
_ZN9rocsolver6v33100L11swap_kernelIdiEEvT0_PT_S2_S4_S2_: ; @_ZN9rocsolver6v33100L11swap_kernelIdiEEvT0_PT_S2_S4_S2_
; %bb.0:
	s_load_dword s16, s[0:1], 0x0
	s_waitcnt lgkmcnt(0)
	s_cmp_lt_i32 s16, 1
	s_cbranch_scc1 .LBB11_10
; %bb.1:
	s_load_dword s8, s[0:1], 0x28
	s_load_dword s9, s[0:1], 0x34
	s_load_dwordx2 s[4:5], s[0:1], 0x8
	s_load_dword s3, s[0:1], 0x10
	s_load_dwordx2 s[6:7], s[0:1], 0x18
	s_load_dword s10, s[0:1], 0x20
	s_waitcnt lgkmcnt(0)
	s_and_b32 s0, s9, 0xffff
	s_mul_i32 s2, s2, s0
	s_cmp_eq_u32 s3, 1
	v_add_u32_e32 v0, s2, v0
	s_mul_i32 s2, s8, s0
	s_cselect_b64 s[0:1], -1, 0
	s_cmp_eq_u32 s10, 1
	s_cselect_b64 s[8:9], -1, 0
	s_and_b64 s[12:13], s[0:1], s[8:9]
	v_cmp_gt_i32_e64 s[0:1], s16, v0
	s_mov_b64 s[8:9], -1
	s_and_b64 vcc, exec, s[12:13]
	s_cbranch_vccnz .LBB11_6
; %bb.2:
	s_and_saveexec_b64 s[8:9], s[0:1]
	s_cbranch_execz .LBB11_5
; %bb.3:
	v_mad_i64_i32 v[2:3], s[12:13], s10, v0, 0
	v_mad_i64_i32 v[4:5], s[12:13], s3, v0, 0
	s_mul_hi_i32 s11, s10, s2
	s_mul_i32 s10, s10, s2
	s_mul_hi_i32 s13, s3, s2
	s_mul_i32 s12, s3, s2
	v_lshl_add_u64 v[2:3], v[2:3], 3, s[6:7]
	s_lshl_b64 s[10:11], s[10:11], 3
	v_lshl_add_u64 v[4:5], v[4:5], 3, s[4:5]
	s_lshl_b64 s[12:13], s[12:13], 3
	s_mov_b64 s[14:15], 0
	v_mov_b32_e32 v1, v0
.LBB11_4:                               ; =>This Inner Loop Header: Depth=1
	global_load_dwordx2 v[6:7], v[4:5], off
	global_load_dwordx2 v[8:9], v[2:3], off
	v_add_u32_e32 v1, s2, v1
	v_cmp_le_i32_e32 vcc, s16, v1
	s_or_b64 s[14:15], vcc, s[14:15]
	s_waitcnt vmcnt(1)
	global_store_dwordx2 v[2:3], v[6:7], off
	s_waitcnt vmcnt(1)
	global_store_dwordx2 v[4:5], v[8:9], off
	v_lshl_add_u64 v[2:3], v[2:3], 0, s[10:11]
	v_lshl_add_u64 v[4:5], v[4:5], 0, s[12:13]
	s_andn2_b64 exec, exec, s[14:15]
	s_cbranch_execnz .LBB11_4
.LBB11_5:
	s_or_b64 exec, exec, s[8:9]
	s_mov_b64 s[8:9], 0
.LBB11_6:
	s_andn2_b64 vcc, exec, s[8:9]
	s_cbranch_vccnz .LBB11_10
; %bb.7:
	s_and_saveexec_b64 s[8:9], s[0:1]
	s_cbranch_execz .LBB11_10
; %bb.8:
	v_ashrrev_i32_e32 v1, 31, v0
	s_ashr_i32 s3, s2, 31
	v_lshlrev_b64 v[2:3], 3, v[0:1]
	s_lshl_b64 s[0:1], s[2:3], 3
	s_mov_b64 s[8:9], 0
.LBB11_9:                               ; =>This Inner Loop Header: Depth=1
	v_lshl_add_u64 v[6:7], s[4:5], 0, v[2:3]
	v_lshl_add_u64 v[4:5], s[6:7], 0, v[2:3]
	global_load_dwordx2 v[8:9], v[6:7], off
	global_load_dwordx2 v[10:11], v[4:5], off
	v_add_u32_e32 v0, s2, v0
	v_cmp_le_i32_e32 vcc, s16, v0
	v_lshl_add_u64 v[2:3], v[2:3], 0, s[0:1]
	s_or_b64 s[8:9], vcc, s[8:9]
	s_waitcnt vmcnt(1)
	global_store_dwordx2 v[4:5], v[8:9], off
	s_waitcnt vmcnt(1)
	global_store_dwordx2 v[6:7], v[10:11], off
	s_andn2_b64 exec, exec, s[8:9]
	s_cbranch_execnz .LBB11_9
.LBB11_10:
	s_endpgm
	.section	.rodata,"a",@progbits
	.p2align	6, 0x0
	.amdhsa_kernel _ZN9rocsolver6v33100L11swap_kernelIdiEEvT0_PT_S2_S4_S2_
		.amdhsa_group_segment_fixed_size 0
		.amdhsa_private_segment_fixed_size 0
		.amdhsa_kernarg_size 296
		.amdhsa_user_sgpr_count 2
		.amdhsa_user_sgpr_dispatch_ptr 0
		.amdhsa_user_sgpr_queue_ptr 0
		.amdhsa_user_sgpr_kernarg_segment_ptr 1
		.amdhsa_user_sgpr_dispatch_id 0
		.amdhsa_user_sgpr_kernarg_preload_length 0
		.amdhsa_user_sgpr_kernarg_preload_offset 0
		.amdhsa_user_sgpr_private_segment_size 0
		.amdhsa_uses_dynamic_stack 0
		.amdhsa_enable_private_segment 0
		.amdhsa_system_sgpr_workgroup_id_x 1
		.amdhsa_system_sgpr_workgroup_id_y 0
		.amdhsa_system_sgpr_workgroup_id_z 0
		.amdhsa_system_sgpr_workgroup_info 0
		.amdhsa_system_vgpr_workitem_id 0
		.amdhsa_next_free_vgpr 12
		.amdhsa_next_free_sgpr 17
		.amdhsa_accum_offset 12
		.amdhsa_reserve_vcc 1
		.amdhsa_float_round_mode_32 0
		.amdhsa_float_round_mode_16_64 0
		.amdhsa_float_denorm_mode_32 3
		.amdhsa_float_denorm_mode_16_64 3
		.amdhsa_dx10_clamp 1
		.amdhsa_ieee_mode 1
		.amdhsa_fp16_overflow 0
		.amdhsa_tg_split 0
		.amdhsa_exception_fp_ieee_invalid_op 0
		.amdhsa_exception_fp_denorm_src 0
		.amdhsa_exception_fp_ieee_div_zero 0
		.amdhsa_exception_fp_ieee_overflow 0
		.amdhsa_exception_fp_ieee_underflow 0
		.amdhsa_exception_fp_ieee_inexact 0
		.amdhsa_exception_int_div_zero 0
	.end_amdhsa_kernel
	.section	.text._ZN9rocsolver6v33100L11swap_kernelIdiEEvT0_PT_S2_S4_S2_,"axG",@progbits,_ZN9rocsolver6v33100L11swap_kernelIdiEEvT0_PT_S2_S4_S2_,comdat
.Lfunc_end11:
	.size	_ZN9rocsolver6v33100L11swap_kernelIdiEEvT0_PT_S2_S4_S2_, .Lfunc_end11-_ZN9rocsolver6v33100L11swap_kernelIdiEEvT0_PT_S2_S4_S2_
                                        ; -- End function
	.set _ZN9rocsolver6v33100L11swap_kernelIdiEEvT0_PT_S2_S4_S2_.num_vgpr, 12
	.set _ZN9rocsolver6v33100L11swap_kernelIdiEEvT0_PT_S2_S4_S2_.num_agpr, 0
	.set _ZN9rocsolver6v33100L11swap_kernelIdiEEvT0_PT_S2_S4_S2_.numbered_sgpr, 17
	.set _ZN9rocsolver6v33100L11swap_kernelIdiEEvT0_PT_S2_S4_S2_.num_named_barrier, 0
	.set _ZN9rocsolver6v33100L11swap_kernelIdiEEvT0_PT_S2_S4_S2_.private_seg_size, 0
	.set _ZN9rocsolver6v33100L11swap_kernelIdiEEvT0_PT_S2_S4_S2_.uses_vcc, 1
	.set _ZN9rocsolver6v33100L11swap_kernelIdiEEvT0_PT_S2_S4_S2_.uses_flat_scratch, 0
	.set _ZN9rocsolver6v33100L11swap_kernelIdiEEvT0_PT_S2_S4_S2_.has_dyn_sized_stack, 0
	.set _ZN9rocsolver6v33100L11swap_kernelIdiEEvT0_PT_S2_S4_S2_.has_recursion, 0
	.set _ZN9rocsolver6v33100L11swap_kernelIdiEEvT0_PT_S2_S4_S2_.has_indirect_call, 0
	.section	.AMDGPU.csdata,"",@progbits
; Kernel info:
; codeLenInByte = 416
; TotalNumSgprs: 23
; NumVgprs: 12
; NumAgprs: 0
; TotalNumVgprs: 12
; ScratchSize: 0
; MemoryBound: 0
; FloatMode: 240
; IeeeMode: 1
; LDSByteSize: 0 bytes/workgroup (compile time only)
; SGPRBlocks: 2
; VGPRBlocks: 1
; NumSGPRsForWavesPerEU: 23
; NumVGPRsForWavesPerEU: 12
; AccumOffset: 12
; Occupancy: 8
; WaveLimiterHint : 0
; COMPUTE_PGM_RSRC2:SCRATCH_EN: 0
; COMPUTE_PGM_RSRC2:USER_SGPR: 2
; COMPUTE_PGM_RSRC2:TRAP_HANDLER: 0
; COMPUTE_PGM_RSRC2:TGID_X_EN: 1
; COMPUTE_PGM_RSRC2:TGID_Y_EN: 0
; COMPUTE_PGM_RSRC2:TGID_Z_EN: 0
; COMPUTE_PGM_RSRC2:TIDIG_COMP_CNT: 0
; COMPUTE_PGM_RSRC3_GFX90A:ACCUM_OFFSET: 2
; COMPUTE_PGM_RSRC3_GFX90A:TG_SPLIT: 0
	.section	.text._ZN9rocsolver6v33100L12steqr_kernelIddPdEEviPT0_lS4_lT1_iilPiS4_iS3_S3_S3_,"axG",@progbits,_ZN9rocsolver6v33100L12steqr_kernelIddPdEEviPT0_lS4_lT1_iilPiS4_iS3_S3_S3_,comdat
	.globl	_ZN9rocsolver6v33100L12steqr_kernelIddPdEEviPT0_lS4_lT1_iilPiS4_iS3_S3_S3_ ; -- Begin function _ZN9rocsolver6v33100L12steqr_kernelIddPdEEviPT0_lS4_lT1_iilPiS4_iS3_S3_S3_
	.p2align	8
	.type	_ZN9rocsolver6v33100L12steqr_kernelIddPdEEviPT0_lS4_lT1_iilPiS4_iS3_S3_S3_,@function
_ZN9rocsolver6v33100L12steqr_kernelIddPdEEviPT0_lS4_lT1_iilPiS4_iS3_S3_S3_: ; @_ZN9rocsolver6v33100L12steqr_kernelIddPdEEviPT0_lS4_lT1_iilPiS4_iS3_S3_S3_
; %bb.0:
	s_mov_b32 s38, s3
	s_load_dword s3, s[0:1], 0x7c
	s_load_dword s4, s[0:1], 0x70
	s_waitcnt lgkmcnt(0)
	s_and_b32 s5, s3, 0xffff
	s_mul_i32 s2, s2, s5
	v_add_u32_e32 v4, s2, v0
	v_cmp_eq_u32_e64 s[8:9], 0, v4
	s_and_saveexec_b64 s[2:3], s[8:9]
; %bb.1:
	v_mov_b32_e32 v0, 0
	ds_write2_b32 v0, v0, v0 offset0:6 offset1:9
; %bb.2:
	s_or_b64 exec, exec, s[2:3]
	s_load_dword s10, s[0:1], 0x0
	s_load_dwordx8 s[20:27], s[0:1], 0x8
	s_load_dwordx8 s[12:19], s[0:1], 0x28
	s_load_dwordx2 s[6:7], s[0:1], 0x48
	s_load_dword s33, s[0:1], 0x50
	s_ashr_i32 s39, s38, 31
	s_waitcnt lgkmcnt(0)
	s_mul_hi_u32 s2, s22, s38
	s_mul_i32 s3, s22, s39
	s_add_i32 s2, s2, s3
	s_mul_i32 s3, s23, s38
	s_add_i32 s3, s2, s3
	s_mul_i32 s2, s22, s38
	v_mov_b32_e32 v6, 0
	s_lshl_b64 s[36:37], s[2:3], 3
	s_barrier
	ds_read2_b32 v[0:1], v6 offset0:6 offset1:9
	s_add_u32 s22, s20, s36
	s_mul_hi_u32 s2, s26, s38
	s_mul_i32 s3, s26, s39
	s_addc_u32 s23, s21, s37
	s_add_i32 s2, s2, s3
	s_mul_i32 s3, s27, s38
	s_add_i32 s43, s2, s3
	s_mul_hi_u32 s2, s16, s38
	s_mul_i32 s3, s16, s39
	s_add_i32 s2, s2, s3
	s_mul_i32 s3, s17, s38
	s_add_i32 s17, s2, s3
	s_waitcnt lgkmcnt(0)
	v_cmp_gt_i32_e32 vcc, s10, v0
	v_cmp_gt_i32_e64 s[2:3], s33, v1
	s_and_b64 s[2:3], vcc, s[2:3]
	s_mul_i32 s34, s4, s5
	s_mul_i32 s42, s26, s38
	s_ashr_i32 s27, s14, 31
	s_mov_b32 s26, s14
	s_mul_i32 s16, s16, s38
	v_readfirstlane_b32 s4, v0
	s_andn2_b64 vcc, exec, s[2:3]
	s_add_i32 s40, s10, -1
	s_cbranch_vccnz .LBB12_223
; %bb.3:
	s_load_dwordx4 s[28:31], s[0:1], 0x58
	s_load_dwordx2 s[44:45], s[0:1], 0x68
	s_lshl_b32 s2, s10, 1
	s_lshl_b64 s[0:1], s[42:43], 3
	s_add_u32 s46, s24, s0
	s_addc_u32 s47, s25, s1
	s_lshl_b64 s[0:1], s[16:17], 3
	s_add_u32 s3, s12, s0
	s_addc_u32 s5, s13, s1
	s_lshl_b64 s[64:65], s[26:27], 3
	s_add_u32 s14, s3, s64
	s_mul_hi_i32 s3, s2, s38
	s_mul_i32 s2, s2, s38
	s_addc_u32 s98, s5, s65
	s_lshl_b64 s[56:57], s[2:3], 3
	s_add_u32 s48, s6, s56
	s_addc_u32 s49, s7, s57
	s_ashr_i32 s11, s10, 31
	s_ashr_i32 s51, s15, 31
	s_add_u32 s52, s20, s36
	s_addc_u32 s53, s21, s37
	s_add_u32 s99, s52, 8
	s_addc_u32 s74, s53, 0
	s_ashr_i32 s35, s34, 31
	s_lshl_b64 s[54:55], s[34:35], 3
	s_lshl_b64 s[62:63], s[10:11], 3
	s_add_u32 s5, s56, s62
	s_addc_u32 s35, s57, s63
	s_add_u32 s5, s6, s5
	s_addc_u32 s6, s7, s35
	s_add_u32 s56, s5, -16
	s_addc_u32 s57, s6, -1
	s_add_u32 s58, s48, -8
	s_addc_u32 s59, s49, -1
	;; [unrolled: 2-line block ×4, first 2 shown]
	s_add_u32 s0, s0, s64
	s_addc_u32 s1, s1, s65
	s_mov_b32 s50, s15
	s_add_u32 s0, s12, s0
	s_addc_u32 s1, s13, s1
	s_lshl_b64 s[64:65], s[50:51], 3
	s_sub_u32 s66, 0, s64
	s_subb_u32 s67, 0, s65
                                        ; implicit-def: $vgpr63 : SGPR spill to VGPR lane
	v_ashrrev_i32_e32 v5, 31, v4
	s_add_u32 s68, s52, -8
	s_mov_b32 s72, 0
	s_mov_b32 s92, 0x667f3bcd
	s_waitcnt lgkmcnt(0)
	v_mul_f64 v[8:9], s[28:29], s[28:29]
	v_cmp_gt_i32_e64 s[2:3], s10, v4
	v_writelane_b32 v63, s56, 0
	v_lshl_add_u64 v[10:11], v[4:5], 3, s[0:1]
	s_addc_u32 s69, s53, -1
	s_mov_b32 s71, 0
	s_brev_b32 s73, 8
	v_mov_b32_e32 v5, 0x260
	s_mov_b32 s93, 0x3ff6a09e
	v_mov_b32_e32 v7, v6
	v_mov_b32_e32 v58, 0x100
	;; [unrolled: 1-line block ×3, first 2 shown]
	v_writelane_b32 v63, s57, 1
                                        ; implicit-def: $vgpr62
                                        ; implicit-def: $vgpr20_vgpr21
                                        ; implicit-def: $vgpr22_vgpr23
                                        ; implicit-def: $vgpr24_vgpr25
                                        ; implicit-def: $vgpr12_vgpr13
                                        ; implicit-def: $vgpr61
                                        ; implicit-def: $vgpr18_vgpr19
                                        ; implicit-def: $vgpr60
                                        ; implicit-def: $vgpr14_vgpr15
                                        ; implicit-def: $vgpr16_vgpr17
	s_branch .LBB12_7
.LBB12_4:                               ;   in Loop: Header=BB12_7 Depth=1
	s_or_b64 exec, exec, s[0:1]
.LBB12_5:                               ;   in Loop: Header=BB12_7 Depth=1
	s_barrier
.LBB12_6:                               ;   in Loop: Header=BB12_7 Depth=1
	ds_read2_b32 v[0:1], v6 offset0:6 offset1:9
	s_waitcnt lgkmcnt(0)
	v_cmp_gt_i32_e32 vcc, s10, v0
	v_cmp_gt_i32_e64 s[0:1], s33, v1
	s_and_b64 s[0:1], vcc, s[0:1]
	s_andn2_b64 vcc, exec, s[0:1]
	v_readfirstlane_b32 s4, v0
	s_cbranch_vccnz .LBB12_223
.LBB12_7:                               ; =>This Loop Header: Depth=1
                                        ;     Child Loop BB12_15 Depth 2
                                        ;     Child Loop BB12_28 Depth 2
                                        ;     Child Loop BB12_38 Depth 2
                                        ;     Child Loop BB12_46 Depth 2
                                        ;     Child Loop BB12_55 Depth 2
                                        ;       Child Loop BB12_61 Depth 3
                                        ;       Child Loop BB12_81 Depth 3
                                        ;       Child Loop BB12_128 Depth 3
                                        ;         Child Loop BB12_129 Depth 4
                                        ;     Child Loop BB12_133 Depth 2
                                        ;       Child Loop BB12_139 Depth 3
                                        ;       Child Loop BB12_159 Depth 3
	;; [unrolled: 1-line block ×3, first 2 shown]
                                        ;         Child Loop BB12_207 Depth 4
                                        ;     Child Loop BB12_215 Depth 2
                                        ;     Child Loop BB12_222 Depth 2
	s_and_saveexec_b64 s[0:1], s[8:9]
	s_cbranch_execz .LBB12_31
; %bb.8:                                ;   in Loop: Header=BB12_7 Depth=1
	s_cmp_lt_i32 s4, 1
	s_cbranch_scc1 .LBB12_10
; %bb.9:                                ;   in Loop: Header=BB12_7 Depth=1
	s_mov_b32 s5, s71
	s_lshl_b64 s[6:7], s[4:5], 3
	s_add_u32 s6, s46, s6
	s_addc_u32 s7, s47, s7
	global_store_dwordx2 v6, v[6:7], s[6:7] offset:-8
.LBB12_10:                              ;   in Loop: Header=BB12_7 Depth=1
	s_mov_b64 s[76:77], -1
	s_mov_b64 s[80:81], 0
	s_cmp_lt_i32 s4, s40
	s_mov_b64 s[6:7], 0
	s_cbranch_scc1 .LBB12_12
; %bb.11:                               ;   in Loop: Header=BB12_7 Depth=1
	s_ashr_i32 s5, s4, 31
	s_mov_b64 s[76:77], 0
	s_mov_b64 s[6:7], -1
.LBB12_12:                              ;   in Loop: Header=BB12_7 Depth=1
	s_andn2_b64 vcc, exec, s[76:77]
	s_cbranch_vccnz .LBB12_17
; %bb.13:                               ;   in Loop: Header=BB12_7 Depth=1
	s_ashr_i32 s5, s4, 31
	s_lshl_b64 s[76:77], s[4:5], 3
	s_add_u32 s82, s46, s76
	s_addc_u32 s83, s47, s77
	s_add_u32 s80, s99, s76
	s_addc_u32 s81, s74, s77
	s_mov_b64 s[84:85], s[4:5]
	s_branch .LBB12_15
.LBB12_14:                              ;   in Loop: Header=BB12_15 Depth=2
	s_andn2_b64 vcc, exec, s[88:89]
	s_cbranch_vccz .LBB12_18
.LBB12_15:                              ;   Parent Loop BB12_7 Depth=1
                                        ; =>  This Inner Loop Header: Depth=2
	global_load_dwordx4 v[0:3], v6, s[80:81] offset:-8
	global_load_dwordx2 v[20:21], v6, s[82:83]
	s_mov_b64 s[76:77], s[82:83]
	s_mov_b64 s[78:79], s[84:85]
	s_mov_b64 s[86:87], -1
                                        ; implicit-def: $sgpr84_sgpr85
                                        ; implicit-def: $sgpr82_sgpr83
	s_waitcnt vmcnt(1)
	v_cmp_lt_f64_e64 s[88:89], |v[0:1]|, s[72:73]
	v_cmp_lt_f64_e64 s[90:91], |v[2:3]|, s[72:73]
	s_and_b64 s[88:89], s[88:89], exec
	s_cselect_b32 s35, 0x100, 0
	s_cselect_b32 s41, 0xffffff80, 0
	s_and_b64 s[88:89], s[90:91], exec
	v_ldexp_f64 v[0:1], |v[0:1]|, s35
	s_cselect_b32 s35, 0x100, 0
	v_rsq_f64_e32 v[22:23], v[0:1]
	v_ldexp_f64 v[2:3], |v[2:3]|, s35
	v_rsq_f64_e32 v[24:25], v[2:3]
	s_cselect_b32 s56, 0xffffff80, 0
	v_mul_f64 v[26:27], v[0:1], v[22:23]
	v_mul_f64 v[22:23], v[22:23], 0.5
	v_fma_f64 v[28:29], -v[22:23], v[26:27], 0.5
	v_mul_f64 v[30:31], v[2:3], v[24:25]
	v_mul_f64 v[24:25], v[24:25], 0.5
	v_fmac_f64_e32 v[26:27], v[26:27], v[28:29]
	v_fmac_f64_e32 v[22:23], v[22:23], v[28:29]
	v_fma_f64 v[28:29], -v[24:25], v[30:31], 0.5
	v_fma_f64 v[32:33], -v[26:27], v[26:27], v[0:1]
	v_fmac_f64_e32 v[30:31], v[30:31], v[28:29]
	v_fmac_f64_e32 v[24:25], v[24:25], v[28:29]
	;; [unrolled: 1-line block ×3, first 2 shown]
	v_fma_f64 v[28:29], -v[30:31], v[30:31], v[2:3]
	v_fma_f64 v[32:33], -v[26:27], v[26:27], v[0:1]
	v_fmac_f64_e32 v[30:31], v[28:29], v[24:25]
	v_fmac_f64_e32 v[26:27], v[32:33], v[22:23]
	v_fma_f64 v[22:23], -v[30:31], v[30:31], v[2:3]
	v_ldexp_f64 v[26:27], v[26:27], s41
	v_fmac_f64_e32 v[30:31], v[22:23], v[24:25]
	v_cmp_class_f64_e32 vcc, v[0:1], v5
	v_ldexp_f64 v[22:23], v[30:31], s56
	s_nop 0
	v_cndmask_b32_e32 v1, v27, v1, vcc
	v_cndmask_b32_e32 v0, v26, v0, vcc
	v_cmp_class_f64_e32 vcc, v[2:3], v5
	s_nop 1
	v_cndmask_b32_e32 v3, v23, v3, vcc
	v_cndmask_b32_e32 v2, v22, v2, vcc
	v_mul_f64 v[0:1], v[0:1], v[2:3]
	v_mul_f64 v[0:1], s[28:29], v[0:1]
	s_waitcnt vmcnt(0)
	v_cmp_nle_f64_e64 s[88:89], |v[20:21]|, v[0:1]
	s_and_b64 vcc, exec, s[88:89]
	s_mov_b64 s[88:89], -1
	s_cbranch_vccz .LBB12_14
; %bb.16:                               ;   in Loop: Header=BB12_15 Depth=2
	s_add_u32 s84, s78, 1
	s_addc_u32 s85, s79, 0
	s_add_u32 s82, s76, 8
	s_addc_u32 s83, s77, 0
	;; [unrolled: 2-line block ×3, first 2 shown]
	s_cmp_ge_i32 s84, s40
	s_mov_b64 s[86:87], 0
	s_cselect_b64 s[88:89], -1, 0
	s_branch .LBB12_14
.LBB12_17:                              ;   in Loop: Header=BB12_7 Depth=1
	s_mov_b32 s35, s4
	s_mov_b64 s[82:83], s[4:5]
	s_and_b64 vcc, exec, s[6:7]
	s_cbranch_vccnz .LBB12_21
	s_branch .LBB12_22
.LBB12_18:                              ;   in Loop: Header=BB12_7 Depth=1
	s_xor_b64 s[56:57], s[86:87], -1
	s_mov_b64 s[80:81], -1
	s_and_b64 vcc, exec, s[56:57]
                                        ; implicit-def: $sgpr82_sgpr83
	s_cbranch_vccz .LBB12_20
; %bb.19:                               ;   in Loop: Header=BB12_7 Depth=1
	s_ashr_i32 s41, s40, 31
	s_mov_b64 s[6:7], -1
	s_mov_b64 s[80:81], 0
	s_mov_b64 s[82:83], s[40:41]
.LBB12_20:                              ;   in Loop: Header=BB12_7 Depth=1
	v_mov_b32_e32 v62, s78
	v_mov_b64_e32 v[20:21], s[78:79]
	v_mov_b64_e32 v[22:23], s[76:77]
	;; [unrolled: 1-line block ×3, first 2 shown]
	s_mov_b32 s35, s40
	s_and_b64 vcc, exec, s[6:7]
	s_cbranch_vccz .LBB12_22
.LBB12_21:                              ;   in Loop: Header=BB12_7 Depth=1
	v_mov_b32_e32 v0, s35
	ds_write_b32 v6, v0 offset:20
.LBB12_22:                              ;   in Loop: Header=BB12_7 Depth=1
	s_andn2_b64 vcc, exec, s[80:81]
	v_mov_b64_e32 v[2:3], s[4:5]
	v_mov_b64_e32 v[0:1], s[82:83]
	v_mov_b32_e32 v28, s35
	s_cbranch_vccnz .LBB12_24
; %bb.23:                               ;   in Loop: Header=BB12_7 Depth=1
	v_mov_b64_e32 v[2:3], v[24:25]
	v_mov_b64_e32 v[0:1], v[20:21]
	v_mov_b32_e32 v28, v62
	ds_write_b32 v6, v62 offset:20
	global_store_dwordx2 v[22:23], v[6:7], off
.LBB12_24:                              ;   in Loop: Header=BB12_7 Depth=1
	v_lshl_add_u64 v[0:1], v[0:1], 3, s[22:23]
	v_lshl_add_u64 v[26:27], v[2:3], 3, s[22:23]
	global_load_dwordx2 v[0:1], v[0:1], off
	s_nop 0
	global_load_dwordx2 v[26:27], v[26:27], off
	v_mov_b32_e32 v29, s4
	v_add_u32_e32 v30, 1, v28
	v_mov_b32_e32 v31, s4
	ds_write_b32 v6, v29 offset:16
	ds_write2_b32 v6, v28, v28 offset0:8 offset1:10
	ds_write_b64 v6, v[30:31] offset:24
	s_waitcnt vmcnt(0)
	v_cmp_lt_f64_e64 s[76:77], |v[0:1]|, |v[26:27]|
	s_and_saveexec_b64 s[6:7], s[76:77]
; %bb.25:                               ;   in Loop: Header=BB12_7 Depth=1
	v_mov_b32_e32 v26, s4
	ds_write2_b32 v6, v28, v26 offset0:4 offset1:8
; %bb.26:                               ;   in Loop: Header=BB12_7 Depth=1
	s_or_b64 exec, exec, s[6:7]
	v_and_b32_e32 v1, 0x7fffffff, v1
	v_cmp_lt_i32_e32 vcc, s4, v28
	s_and_saveexec_b64 s[6:7], vcc
	s_cbranch_execz .LBB12_30
; %bb.27:                               ;   in Loop: Header=BB12_7 Depth=1
	v_lshlrev_b64 v[26:27], 3, v[2:3]
	v_lshl_add_u64 v[2:3], s[52:53], 0, v[26:27]
	v_lshl_add_u64 v[26:27], s[46:47], 0, v[26:27]
	s_mov_b64 s[76:77], 0
.LBB12_28:                              ;   Parent Loop BB12_7 Depth=1
                                        ; =>  This Inner Loop Header: Depth=2
	global_load_dwordx2 v[30:31], v[26:27], off
	global_load_dwordx2 v[32:33], v[2:3], off
	s_add_i32 s4, s4, 1
	v_max_f64 v[0:1], v[0:1], v[0:1]
	v_cmp_ge_i32_e32 vcc, s4, v28
	v_lshl_add_u64 v[2:3], v[2:3], 0, 8
	v_lshl_add_u64 v[26:27], v[26:27], 0, 8
	s_or_b64 s[76:77], vcc, s[76:77]
	s_waitcnt vmcnt(1)
	v_max_f64 v[30:31], |v[30:31]|, |v[30:31]|
	s_waitcnt vmcnt(0)
	v_max_f64 v[32:33], |v[32:33]|, |v[32:33]|
	v_max_f64 v[30:31], v[32:33], v[30:31]
	v_max_f64 v[0:1], v[0:1], v[30:31]
	s_andn2_b64 exec, exec, s[76:77]
	s_cbranch_execnz .LBB12_28
; %bb.29:                               ;   in Loop: Header=BB12_7 Depth=1
	s_or_b64 exec, exec, s[76:77]
.LBB12_30:                              ;   in Loop: Header=BB12_7 Depth=1
	s_or_b64 exec, exec, s[6:7]
	ds_write_b64 v6, v[0:1] offset:8
.LBB12_31:                              ;   in Loop: Header=BB12_7 Depth=1
	s_or_b64 exec, exec, s[0:1]
	s_waitcnt lgkmcnt(0)
	s_barrier
	ds_read2_b32 v[2:3], v6 offset0:4 offset1:8
	ds_read_b64 v[0:1], v6 offset:8
	s_waitcnt lgkmcnt(1)
	v_cmp_eq_u32_e32 vcc, v3, v2
	s_waitcnt lgkmcnt(0)
	v_cmp_eq_f64_e64 s[0:1], 0, v[0:1]
	s_or_b64 s[0:1], vcc, s[0:1]
	s_and_b64 vcc, exec, s[0:1]
	s_cbranch_vccnz .LBB12_6
; %bb.32:                               ;   in Loop: Header=BB12_7 Depth=1
	v_cmp_nlt_f64_e32 vcc, s[44:45], v[0:1]
	s_mov_b64 s[0:1], -1
	s_cbranch_vccz .LBB12_41
; %bb.33:                               ;   in Loop: Header=BB12_7 Depth=1
	v_cmp_ngt_f64_e32 vcc, s[30:31], v[0:1]
	s_cbranch_vccnz .LBB12_40
; %bb.34:                               ;   in Loop: Header=BB12_7 Depth=1
	v_div_scale_f64 v[26:27], s[0:1], s[30:31], s[30:31], v[0:1]
	v_rcp_f64_e32 v[28:29], v[26:27]
	ds_read2_b32 v[2:3], v6 offset0:7 offset1:10
	v_fma_f64 v[30:31], -v[26:27], v[28:29], 1.0
	v_fmac_f64_e32 v[28:29], v[28:29], v[30:31]
	v_fma_f64 v[30:31], -v[26:27], v[28:29], 1.0
	v_fmac_f64_e32 v[28:29], v[28:29], v[30:31]
	v_div_scale_f64 v[30:31], vcc, v[0:1], s[30:31], v[0:1]
	v_mul_f64 v[32:33], v[30:31], v[28:29]
	v_fma_f64 v[26:27], -v[26:27], v[32:33], v[30:31]
	s_nop 1
	v_div_fmas_f64 v[26:27], v[26:27], v[28:29], v[32:33]
	v_div_fixup_f64 v[26:27], v[26:27], s[30:31], v[0:1]
	s_and_saveexec_b64 s[0:1], s[8:9]
	s_cbranch_execz .LBB12_36
; %bb.35:                               ;   in Loop: Header=BB12_7 Depth=1
	s_waitcnt lgkmcnt(0)
	v_ashrrev_i32_e32 v29, 31, v3
	v_mov_b32_e32 v28, v3
	v_lshlrev_b64 v[28:29], 3, v[28:29]
	v_lshl_add_u64 v[28:29], s[22:23], 0, v[28:29]
	global_load_dwordx2 v[30:31], v[28:29], off
	s_waitcnt vmcnt(0)
	v_mul_f64 v[30:31], v[26:27], v[30:31]
	global_store_dwordx2 v[28:29], v[30:31], off
.LBB12_36:                              ;   in Loop: Header=BB12_7 Depth=1
	s_or_b64 exec, exec, s[0:1]
	s_waitcnt lgkmcnt(0)
	v_add_u32_e32 v28, v2, v4
	v_cmp_lt_i32_e32 vcc, v28, v3
	s_and_saveexec_b64 s[0:1], vcc
	s_cbranch_execz .LBB12_39
; %bb.37:                               ;   in Loop: Header=BB12_7 Depth=1
	v_ashrrev_i32_e32 v29, 31, v28
	v_lshlrev_b64 v[30:31], 3, v[28:29]
	s_mov_b64 s[4:5], 0
.LBB12_38:                              ;   Parent Loop BB12_7 Depth=1
                                        ; =>  This Inner Loop Header: Depth=2
	v_lshl_add_u64 v[32:33], s[22:23], 0, v[30:31]
	global_load_dwordx2 v[34:35], v[32:33], off
	v_lshl_add_u64 v[36:37], s[46:47], 0, v[30:31]
	v_add_u32_e32 v28, s34, v28
	v_cmp_ge_i32_e32 vcc, v28, v3
	v_lshl_add_u64 v[30:31], v[30:31], 0, s[54:55]
	s_or_b64 s[4:5], vcc, s[4:5]
	s_waitcnt vmcnt(0)
	v_mul_f64 v[34:35], v[26:27], v[34:35]
	global_store_dwordx2 v[32:33], v[34:35], off
	global_load_dwordx2 v[32:33], v[36:37], off
	s_waitcnt vmcnt(0)
	v_mul_f64 v[32:33], v[26:27], v[32:33]
	global_store_dwordx2 v[36:37], v[32:33], off
	s_andn2_b64 exec, exec, s[4:5]
	s_cbranch_execnz .LBB12_38
.LBB12_39:                              ;   in Loop: Header=BB12_7 Depth=1
	s_or_b64 exec, exec, s[0:1]
.LBB12_40:                              ;   in Loop: Header=BB12_7 Depth=1
	s_mov_b64 s[0:1], 0
.LBB12_41:                              ;   in Loop: Header=BB12_7 Depth=1
	s_andn2_b64 vcc, exec, s[0:1]
	s_cbranch_vccnz .LBB12_48
; %bb.42:                               ;   in Loop: Header=BB12_7 Depth=1
	v_div_scale_f64 v[26:27], s[0:1], s[44:45], s[44:45], v[0:1]
	v_rcp_f64_e32 v[28:29], v[26:27]
	ds_read2_b32 v[2:3], v6 offset0:7 offset1:10
	v_fma_f64 v[30:31], -v[26:27], v[28:29], 1.0
	v_fmac_f64_e32 v[28:29], v[28:29], v[30:31]
	v_fma_f64 v[30:31], -v[26:27], v[28:29], 1.0
	v_fmac_f64_e32 v[28:29], v[28:29], v[30:31]
	v_div_scale_f64 v[30:31], vcc, v[0:1], s[44:45], v[0:1]
	v_mul_f64 v[32:33], v[30:31], v[28:29]
	v_fma_f64 v[26:27], -v[26:27], v[32:33], v[30:31]
	s_nop 1
	v_div_fmas_f64 v[26:27], v[26:27], v[28:29], v[32:33]
	v_div_fixup_f64 v[0:1], v[26:27], s[44:45], v[0:1]
	s_and_saveexec_b64 s[0:1], s[8:9]
	s_cbranch_execz .LBB12_44
; %bb.43:                               ;   in Loop: Header=BB12_7 Depth=1
	s_waitcnt lgkmcnt(0)
	v_ashrrev_i32_e32 v27, 31, v3
	v_mov_b32_e32 v26, v3
	v_lshlrev_b64 v[26:27], 3, v[26:27]
	v_lshl_add_u64 v[26:27], s[22:23], 0, v[26:27]
	global_load_dwordx2 v[28:29], v[26:27], off
	s_waitcnt vmcnt(0)
	v_mul_f64 v[28:29], v[0:1], v[28:29]
	global_store_dwordx2 v[26:27], v[28:29], off
.LBB12_44:                              ;   in Loop: Header=BB12_7 Depth=1
	s_or_b64 exec, exec, s[0:1]
	s_waitcnt lgkmcnt(0)
	v_add_u32_e32 v26, v2, v4
	v_cmp_lt_i32_e32 vcc, v26, v3
	s_and_saveexec_b64 s[0:1], vcc
	s_cbranch_execz .LBB12_47
; %bb.45:                               ;   in Loop: Header=BB12_7 Depth=1
	v_ashrrev_i32_e32 v27, 31, v26
	v_lshlrev_b64 v[28:29], 3, v[26:27]
	s_mov_b64 s[4:5], 0
.LBB12_46:                              ;   Parent Loop BB12_7 Depth=1
                                        ; =>  This Inner Loop Header: Depth=2
	v_lshl_add_u64 v[30:31], s[22:23], 0, v[28:29]
	global_load_dwordx2 v[32:33], v[30:31], off
	v_lshl_add_u64 v[34:35], s[46:47], 0, v[28:29]
	v_add_u32_e32 v26, s34, v26
	v_cmp_ge_i32_e32 vcc, v26, v3
	v_lshl_add_u64 v[28:29], v[28:29], 0, s[54:55]
	s_or_b64 s[4:5], vcc, s[4:5]
	s_waitcnt vmcnt(0)
	v_mul_f64 v[32:33], v[0:1], v[32:33]
	global_store_dwordx2 v[30:31], v[32:33], off
	global_load_dwordx2 v[30:31], v[34:35], off
	s_waitcnt vmcnt(0)
	v_mul_f64 v[30:31], v[0:1], v[30:31]
	global_store_dwordx2 v[34:35], v[30:31], off
	s_andn2_b64 exec, exec, s[4:5]
	s_cbranch_execnz .LBB12_46
.LBB12_47:                              ;   in Loop: Header=BB12_7 Depth=1
	s_or_b64 exec, exec, s[0:1]
.LBB12_48:                              ;   in Loop: Header=BB12_7 Depth=1
	s_barrier
	ds_read_b32 v26, v6 offset:16
	ds_read_b64 v[28:29], v6 offset:32
	s_mov_b64 s[6:7], -1
                                        ; implicit-def: $vgpr32_vgpr33
                                        ; implicit-def: $vgpr30_vgpr31
                                        ; implicit-def: $vgpr27
	s_waitcnt lgkmcnt(0)
	v_cmp_gt_i32_e64 s[0:1], s33, v29
	v_cmp_lt_i32_e32 vcc, v28, v26
	s_nop 0
	v_cndmask_b32_e64 v0, 0, 1, s[0:1]
	v_cmp_ne_u32_e64 s[4:5], 1, v0
	s_cbranch_vccnz .LBB12_51
; %bb.49:                               ;   in Loop: Header=BB12_7 Depth=1
	s_and_b64 vcc, exec, s[4:5]
	v_mov_b64_e32 v[32:33], v[16:17]
	v_mov_b64_e32 v[30:31], v[14:15]
	v_mov_b32_e32 v27, v60
	v_mov_b32_e32 v41, v29
	;; [unrolled: 1-line block ×4, first 2 shown]
	s_cbranch_vccz .LBB12_55
.LBB12_50:                              ;   in Loop: Header=BB12_7 Depth=1
	s_mov_b64 s[6:7], 0
.LBB12_51:                              ;   in Loop: Header=BB12_7 Depth=1
	s_andn2_b64 vcc, exec, s[6:7]
	s_cbranch_vccnz .LBB12_209
; %bb.52:                               ;   in Loop: Header=BB12_7 Depth=1
	s_and_b64 vcc, exec, s[4:5]
	s_cbranch_vccz .LBB12_133
	s_branch .LBB12_210
.LBB12_53:                              ;   in Loop: Header=BB12_55 Depth=2
	s_or_b64 exec, exec, s[0:1]
	s_barrier
	ds_read_b32 v34, v6 offset:16
.LBB12_54:                              ;   in Loop: Header=BB12_55 Depth=2
	ds_read_b64 v[40:41], v6 offset:32
	s_waitcnt lgkmcnt(0)
	v_cmp_le_i32_e32 vcc, v34, v40
	v_cmp_gt_i32_e64 s[0:1], s33, v41
	s_and_b64 s[0:1], vcc, s[0:1]
	s_andn2_b64 vcc, exec, s[0:1]
	s_cbranch_vccnz .LBB12_50
.LBB12_55:                              ;   Parent Loop BB12_7 Depth=1
                                        ; =>  This Loop Header: Depth=2
                                        ;       Child Loop BB12_61 Depth 3
                                        ;       Child Loop BB12_81 Depth 3
	;; [unrolled: 1-line block ×3, first 2 shown]
                                        ;         Child Loop BB12_129 Depth 4
	s_and_saveexec_b64 s[0:1], s[8:9]
	s_cbranch_execz .LBB12_124
; %bb.56:                               ;   in Loop: Header=BB12_55 Depth=2
	v_cmp_lt_i32_e32 vcc, v34, v40
	s_mov_b64 s[6:7], 0
	s_cbranch_vccnz .LBB12_58
; %bb.57:                               ;   in Loop: Header=BB12_55 Depth=2
	v_ashrrev_i32_e32 v35, 31, v34
	s_mov_b64 s[76:77], -1
	v_mov_b64_e32 v[38:39], v[34:35]
	v_mov_b32_e32 v0, v34
	s_cbranch_execz .LBB12_59
	s_branch .LBB12_64
.LBB12_58:                              ;   in Loop: Header=BB12_55 Depth=2
                                        ; implicit-def: $vgpr38_vgpr39
	s_mov_b64 s[76:77], 0
	v_mov_b32_e32 v0, v34
.LBB12_59:                              ;   in Loop: Header=BB12_55 Depth=2
	v_ashrrev_i32_e32 v35, 31, v34
	v_lshlrev_b64 v[0:1], 3, v[34:35]
	v_lshl_add_u64 v[2:3], s[46:47], 0, v[0:1]
	v_lshl_add_u64 v[0:1], s[52:53], 0, v[0:1]
	v_mov_b32_e32 v32, v34
	s_branch .LBB12_61
.LBB12_60:                              ;   in Loop: Header=BB12_61 Depth=3
	v_add_u32_e32 v32, 1, v27
	v_lshl_add_u64 v[2:3], v[30:31], 0, 8
	v_lshl_add_u64 v[0:1], v[0:1], 0, 8
	s_mov_b64 s[6:7], 0
	v_cmp_ge_i32_e64 s[76:77], v32, v40
	s_andn2_b64 vcc, exec, s[76:77]
	s_cbranch_vccz .LBB12_63
.LBB12_61:                              ;   Parent Loop BB12_7 Depth=1
                                        ;     Parent Loop BB12_55 Depth=2
                                        ; =>    This Inner Loop Header: Depth=3
	v_mov_b64_e32 v[30:31], v[2:3]
	global_load_dwordx4 v[36:39], v[0:1], off
	s_nop 0
	global_load_dwordx2 v[2:3], v[2:3], off
	v_mov_b32_e32 v27, v32
	s_waitcnt vmcnt(1)
	v_mul_f64 v[32:33], v[36:37], v[38:39]
	s_waitcnt vmcnt(0)
	v_mul_f64 v[2:3], v[2:3], v[2:3]
	v_mul_f64 v[32:33], v[8:9], |v[32:33]|
	v_cmp_le_f64_e64 s[6:7], |v[2:3]|, v[32:33]
	s_and_b64 vcc, exec, s[6:7]
	s_cbranch_vccz .LBB12_60
; %bb.62:                               ;   in Loop: Header=BB12_55 Depth=2
	s_mov_b64 s[6:7], -1
                                        ; implicit-def: $vgpr32
                                        ; implicit-def: $vgpr2_vgpr3
                                        ; implicit-def: $vgpr0_vgpr1
.LBB12_63:                              ;   in Loop: Header=BB12_55 Depth=2
	s_xor_b64 s[76:77], s[6:7], -1
	s_mov_b64 s[6:7], -1
	v_mov_b64_e32 v[32:33], v[34:35]
	v_mov_b32_e32 v0, v40
	v_mov_b64_e32 v[38:39], v[34:35]
.LBB12_64:                              ;   in Loop: Header=BB12_55 Depth=2
	s_and_b64 vcc, exec, s[76:77]
	s_cbranch_vccnz .LBB12_93
; %bb.65:                               ;   in Loop: Header=BB12_55 Depth=2
	s_andn2_b64 vcc, exec, s[6:7]
	s_cbranch_vccnz .LBB12_67
.LBB12_66:                              ;   in Loop: Header=BB12_55 Depth=2
	v_mov_b64_e32 v[38:39], v[32:33]
	v_mov_b32_e32 v0, v27
	ds_write2_b32 v6, v27, v34 offset0:5 offset1:7
	global_store_dwordx2 v[30:31], v[6:7], off
.LBB12_67:                              ;   in Loop: Header=BB12_55 Depth=2
	v_lshl_add_u64 v[36:37], v[38:39], 3, s[22:23]
	global_load_dwordx2 v[44:45], v[36:37], off
	v_cmp_ne_u32_e32 vcc, v0, v34
	v_add_u32_e32 v1, 1, v34
	s_waitcnt vmcnt(0)
	ds_write_b64 v6, v[44:45]
	s_and_saveexec_b64 s[6:7], vcc
	s_xor_b64 s[76:77], exec, s[6:7]
	s_cbranch_execz .LBB12_121
; %bb.68:                               ;   in Loop: Header=BB12_55 Depth=2
	v_cmp_ne_u32_e32 vcc, v0, v1
	s_and_saveexec_b64 s[6:7], vcc
	s_xor_b64 s[6:7], exec, s[6:7]
	s_cbranch_execz .LBB12_97
; %bb.69:                               ;   in Loop: Header=BB12_55 Depth=2
	v_lshl_add_u64 v[2:3], v[38:39], 3, s[46:47]
	global_load_dwordx2 v[42:43], v[36:37], off offset:8
	global_load_dwordx2 v[50:51], v[2:3], off
	v_ashrrev_i32_e32 v1, 31, v0
	v_lshl_add_u64 v[46:47], v[0:1], 3, s[22:23]
	global_load_dwordx2 v[48:49], v[46:47], off
	v_add_u32_e32 v35, 1, v41
	ds_write_b64 v6, v[6:7]
	ds_write_b32 v6, v35 offset:36
	v_mov_b64_e32 v[38:39], 0
	s_waitcnt vmcnt(2)
	v_add_f64 v[40:41], v[42:43], -v[44:45]
	s_waitcnt vmcnt(1)
	v_add_f64 v[42:43], v[50:51], v[50:51]
	v_div_scale_f64 v[52:53], s[78:79], v[42:43], v[42:43], v[40:41]
	v_rcp_f64_e32 v[54:55], v[52:53]
	v_div_scale_f64 v[56:57], vcc, v[40:41], v[42:43], v[40:41]
	v_fma_f64 v[64:65], -v[52:53], v[54:55], 1.0
	v_fmac_f64_e32 v[54:55], v[54:55], v[64:65]
	v_fma_f64 v[64:65], -v[52:53], v[54:55], 1.0
	v_fmac_f64_e32 v[54:55], v[54:55], v[64:65]
	v_mul_f64 v[64:65], v[56:57], v[54:55]
	v_fma_f64 v[52:53], -v[52:53], v[64:65], v[56:57]
	v_div_fmas_f64 v[52:53], v[52:53], v[54:55], v[64:65]
	v_div_fixup_f64 v[40:41], v[52:53], v[42:43], v[40:41]
	v_fma_f64 v[42:43], v[40:41], v[40:41], 1.0
	v_cmp_gt_f64_e32 vcc, s[72:73], v[42:43]
	s_nop 1
	v_cndmask_b32_e32 v52, 0, v58, vcc
	v_ldexp_f64 v[42:43], v[42:43], v52
	v_rsq_f64_e32 v[52:53], v[42:43]
	v_cndmask_b32_e32 v35, 0, v59, vcc
	v_cmp_class_f64_e32 vcc, v[42:43], v5
	v_mul_f64 v[54:55], v[42:43], v[52:53]
	v_mul_f64 v[52:53], v[52:53], 0.5
	v_fma_f64 v[56:57], -v[52:53], v[54:55], 0.5
	v_fmac_f64_e32 v[54:55], v[54:55], v[56:57]
	v_fmac_f64_e32 v[52:53], v[52:53], v[56:57]
	v_fma_f64 v[56:57], -v[54:55], v[54:55], v[42:43]
	v_fmac_f64_e32 v[54:55], v[56:57], v[52:53]
	v_fma_f64 v[56:57], -v[54:55], v[54:55], v[42:43]
	v_fmac_f64_e32 v[54:55], v[56:57], v[52:53]
	v_ldexp_f64 v[52:53], v[54:55], v35
	v_cndmask_b32_e32 v35, v53, v43, vcc
	v_cndmask_b32_e32 v42, v52, v42, vcc
	v_and_b32_e32 v43, 0x7fffffff, v35
	v_or_b32_e32 v35, 0x80000000, v35
	v_cmp_nle_f64_e32 vcc, 0, v[40:41]
	s_waitcnt vmcnt(0)
	v_add_f64 v[54:55], v[48:49], -v[44:45]
	v_cndmask_b32_e32 v43, v43, v35, vcc
	v_add_f64 v[40:41], v[40:41], v[42:43]
	v_div_scale_f64 v[42:43], s[78:79], v[40:41], v[40:41], v[50:51]
	v_rcp_f64_e32 v[52:53], v[42:43]
	v_div_scale_f64 v[56:57], vcc, v[50:51], v[40:41], v[50:51]
	v_fma_f64 v[64:65], -v[42:43], v[52:53], 1.0
	v_fmac_f64_e32 v[52:53], v[52:53], v[64:65]
	v_fma_f64 v[64:65], -v[42:43], v[52:53], 1.0
	v_fmac_f64_e32 v[52:53], v[52:53], v[64:65]
	v_mul_f64 v[64:65], v[56:57], v[52:53]
	v_fma_f64 v[42:43], -v[42:43], v[64:65], v[56:57]
	v_div_fmas_f64 v[42:43], v[42:43], v[52:53], v[64:65]
	v_div_fixup_f64 v[40:41], v[42:43], v[40:41], v[50:51]
	v_add_f64 v[40:41], v[54:55], v[40:41]
	v_cmp_gt_i32_e32 vcc, v0, v34
	s_and_saveexec_b64 s[78:79], vcc
	s_cbranch_execz .LBB12_96
; %bb.70:                               ;   in Loop: Header=BB12_55 Depth=2
	v_lshl_add_u64 v[38:39], v[0:1], 3, s[46:47]
	global_load_dwordx2 v[44:45], v[38:39], off offset:-8
	v_mov_b64_e32 v[50:51], 0
	v_mov_b64_e32 v[42:43], 1.0
	s_waitcnt vmcnt(0)
	v_cmp_neq_f64_e32 vcc, 0, v[44:45]
	s_and_saveexec_b64 s[80:81], vcc
	s_cbranch_execz .LBB12_78
; %bb.71:                               ;   in Loop: Header=BB12_55 Depth=2
	v_mov_b64_e32 v[42:43], 0
	v_cmp_neq_f64_e32 vcc, 0, v[40:41]
	v_mov_b64_e32 v[50:51], 1.0
	s_and_saveexec_b64 s[82:83], vcc
	s_cbranch_execz .LBB12_77
; %bb.72:                               ;   in Loop: Header=BB12_55 Depth=2
	v_cmp_ngt_f64_e64 s[84:85], |v[44:45]|, |v[40:41]|
                                        ; implicit-def: $vgpr50_vgpr51
                                        ; implicit-def: $vgpr42_vgpr43
	s_and_saveexec_b64 s[86:87], s[84:85]
	s_xor_b64 s[84:85], exec, s[86:87]
	s_cbranch_execz .LBB12_74
; %bb.73:                               ;   in Loop: Header=BB12_55 Depth=2
	v_div_scale_f64 v[38:39], s[86:87], v[40:41], v[40:41], -v[44:45]
	v_rcp_f64_e32 v[42:43], v[38:39]
	v_div_scale_f64 v[50:51], vcc, -v[44:45], v[40:41], -v[44:45]
	v_fma_f64 v[52:53], -v[38:39], v[42:43], 1.0
	v_fmac_f64_e32 v[42:43], v[42:43], v[52:53]
	v_fma_f64 v[52:53], -v[38:39], v[42:43], 1.0
	v_fmac_f64_e32 v[42:43], v[42:43], v[52:53]
	v_mul_f64 v[52:53], v[50:51], v[42:43]
	v_fma_f64 v[38:39], -v[38:39], v[52:53], v[50:51]
	v_div_fmas_f64 v[38:39], v[38:39], v[42:43], v[52:53]
	v_div_fixup_f64 v[38:39], v[38:39], v[40:41], -v[44:45]
	v_fma_f64 v[40:41], v[38:39], v[38:39], 1.0
	v_cmp_gt_f64_e32 vcc, s[72:73], v[40:41]
	s_nop 1
	v_cndmask_b32_e32 v35, 0, v58, vcc
	v_ldexp_f64 v[40:41], v[40:41], v35
	v_rsq_f64_e32 v[42:43], v[40:41]
	v_cndmask_b32_e32 v35, 0, v59, vcc
	v_cmp_class_f64_e32 vcc, v[40:41], v5
	v_mul_f64 v[50:51], v[40:41], v[42:43]
	v_mul_f64 v[42:43], v[42:43], 0.5
	v_fma_f64 v[52:53], -v[42:43], v[50:51], 0.5
	v_fmac_f64_e32 v[50:51], v[50:51], v[52:53]
	v_fma_f64 v[54:55], -v[50:51], v[50:51], v[40:41]
	v_fmac_f64_e32 v[42:43], v[42:43], v[52:53]
	v_fmac_f64_e32 v[50:51], v[54:55], v[42:43]
	v_fma_f64 v[52:53], -v[50:51], v[50:51], v[40:41]
	v_fmac_f64_e32 v[50:51], v[52:53], v[42:43]
	v_ldexp_f64 v[42:43], v[50:51], v35
	v_cndmask_b32_e32 v41, v43, v41, vcc
	v_cndmask_b32_e32 v40, v42, v40, vcc
	v_div_scale_f64 v[42:43], s[86:87], v[40:41], v[40:41], 1.0
	v_rcp_f64_e32 v[50:51], v[42:43]
	s_nop 0
	v_fma_f64 v[52:53], -v[42:43], v[50:51], 1.0
	v_fmac_f64_e32 v[50:51], v[50:51], v[52:53]
	v_fma_f64 v[52:53], -v[42:43], v[50:51], 1.0
	v_fmac_f64_e32 v[50:51], v[50:51], v[52:53]
	v_div_scale_f64 v[52:53], vcc, 1.0, v[40:41], 1.0
	v_mul_f64 v[54:55], v[52:53], v[50:51]
	v_fma_f64 v[42:43], -v[42:43], v[54:55], v[52:53]
	s_nop 1
	v_div_fmas_f64 v[42:43], v[42:43], v[50:51], v[54:55]
	v_div_fixup_f64 v[42:43], v[42:43], v[40:41], 1.0
	v_mul_f64 v[50:51], v[38:39], v[42:43]
                                        ; implicit-def: $vgpr40_vgpr41
.LBB12_74:                              ;   in Loop: Header=BB12_55 Depth=2
	s_andn2_saveexec_b64 s[84:85], s[84:85]
	s_cbranch_execz .LBB12_76
; %bb.75:                               ;   in Loop: Header=BB12_55 Depth=2
	v_div_scale_f64 v[38:39], s[86:87], v[44:45], v[44:45], -v[40:41]
	v_rcp_f64_e32 v[42:43], v[38:39]
	v_div_scale_f64 v[50:51], vcc, -v[40:41], v[44:45], -v[40:41]
	v_fma_f64 v[52:53], -v[38:39], v[42:43], 1.0
	v_fmac_f64_e32 v[42:43], v[42:43], v[52:53]
	v_fma_f64 v[52:53], -v[38:39], v[42:43], 1.0
	v_fmac_f64_e32 v[42:43], v[42:43], v[52:53]
	v_mul_f64 v[52:53], v[50:51], v[42:43]
	v_fma_f64 v[38:39], -v[38:39], v[52:53], v[50:51]
	v_div_fmas_f64 v[38:39], v[38:39], v[42:43], v[52:53]
	v_div_fixup_f64 v[38:39], v[38:39], v[44:45], -v[40:41]
	v_fma_f64 v[40:41], v[38:39], v[38:39], 1.0
	v_cmp_gt_f64_e32 vcc, s[72:73], v[40:41]
	s_nop 1
	v_cndmask_b32_e32 v35, 0, v58, vcc
	v_ldexp_f64 v[40:41], v[40:41], v35
	v_rsq_f64_e32 v[42:43], v[40:41]
	v_cndmask_b32_e32 v35, 0, v59, vcc
	v_cmp_class_f64_e32 vcc, v[40:41], v5
	v_mul_f64 v[50:51], v[40:41], v[42:43]
	v_mul_f64 v[42:43], v[42:43], 0.5
	v_fma_f64 v[52:53], -v[42:43], v[50:51], 0.5
	v_fmac_f64_e32 v[50:51], v[50:51], v[52:53]
	v_fma_f64 v[54:55], -v[50:51], v[50:51], v[40:41]
	v_fmac_f64_e32 v[42:43], v[42:43], v[52:53]
	v_fmac_f64_e32 v[50:51], v[54:55], v[42:43]
	v_fma_f64 v[52:53], -v[50:51], v[50:51], v[40:41]
	v_fmac_f64_e32 v[50:51], v[52:53], v[42:43]
	v_ldexp_f64 v[42:43], v[50:51], v35
	v_cndmask_b32_e32 v41, v43, v41, vcc
	v_cndmask_b32_e32 v40, v42, v40, vcc
	v_div_scale_f64 v[42:43], s[86:87], v[40:41], v[40:41], 1.0
	v_rcp_f64_e32 v[50:51], v[42:43]
	s_nop 0
	v_fma_f64 v[52:53], -v[42:43], v[50:51], 1.0
	v_fmac_f64_e32 v[50:51], v[50:51], v[52:53]
	v_fma_f64 v[52:53], -v[42:43], v[50:51], 1.0
	v_fmac_f64_e32 v[50:51], v[50:51], v[52:53]
	v_div_scale_f64 v[52:53], vcc, 1.0, v[40:41], 1.0
	v_mul_f64 v[54:55], v[52:53], v[50:51]
	v_fma_f64 v[42:43], -v[42:43], v[54:55], v[52:53]
	s_nop 1
	v_div_fmas_f64 v[42:43], v[42:43], v[50:51], v[54:55]
	v_div_fixup_f64 v[50:51], v[42:43], v[40:41], 1.0
	v_mul_f64 v[42:43], v[38:39], v[50:51]
.LBB12_76:                              ;   in Loop: Header=BB12_55 Depth=2
	s_or_b64 exec, exec, s[84:85]
.LBB12_77:                              ;   in Loop: Header=BB12_55 Depth=2
	s_or_b64 exec, exec, s[82:83]
.LBB12_78:                              ;   in Loop: Header=BB12_55 Depth=2
	s_or_b64 exec, exec, s[80:81]
	global_load_dwordx2 v[38:39], v[46:47], off offset:-8
	v_add_f64 v[40:41], v[42:43], v[42:43]
	v_add_u32_e32 v52, -1, v0
	v_lshl_add_u64 v[54:55], v[0:1], 3, s[48:49]
	v_lshl_add_u64 v[56:57], v[54:55], 0, -8
	v_cmp_gt_i32_e32 vcc, v52, v34
	v_lshl_add_u64 v[56:57], s[10:11], 3, v[56:57]
	s_waitcnt vmcnt(0)
	v_add_f64 v[38:39], v[38:39], -v[48:49]
	v_mul_f64 v[38:39], v[50:51], v[38:39]
	v_fma_f64 v[40:41], v[44:45], v[40:41], -v[38:39]
	v_mul_f64 v[38:39], v[40:41], -v[50:51]
	v_fma_f64 v[48:49], v[40:41], -v[50:51], v[48:49]
	v_fma_f64 v[40:41], v[42:43], v[40:41], -v[44:45]
	ds_write_b64 v6, v[38:39]
	global_store_dwordx2 v[46:47], v[48:49], off
	global_store_dwordx2 v[54:55], v[42:43], off offset:-8
	global_store_dwordx2 v[56:57], v[50:51], off offset:-8
	s_and_saveexec_b64 s[80:81], vcc
	s_cbranch_execz .LBB12_95
; %bb.79:                               ;   in Loop: Header=BB12_55 Depth=2
	v_ashrrev_i32_e32 v53, 31, v52
	v_readlane_b32 s90, v63, 0
	v_xor_b32_e32 v51, 0x80000000, v51
	v_lshlrev_b64 v[44:45], 3, v[52:53]
	s_mov_b32 s35, -1
	s_mov_b64 s[82:83], 0
	s_mov_b64 s[84:85], s[60:61]
	;; [unrolled: 1-line block ×4, first 2 shown]
	v_readlane_b32 s91, v63, 1
	s_branch .LBB12_81
.LBB12_80:                              ;   in Loop: Header=BB12_81 Depth=3
	v_lshl_add_u64 v[48:49], s[86:87], 0, v[44:45]
	global_load_dwordx4 v[64:67], v[48:49], off offset:-8
	v_lshl_add_u64 v[56:57], s[90:91], 0, v[44:45]
	s_add_u32 s90, s90, -8
	s_addc_u32 s91, s91, -1
	v_mul_f64 v[40:41], v[42:43], v[46:47]
	v_lshl_add_u64 v[46:47], s[88:89], 0, v[44:45]
	s_add_u32 s88, s88, -8
	s_addc_u32 s89, s89, -1
	s_add_i32 s35, s35, -1
	s_add_u32 s86, s86, -8
	s_addc_u32 s87, s87, -1
	v_add_f64 v[42:43], v[52:53], v[52:53]
	v_add_u32_e32 v1, s35, v0
	s_add_u32 s84, s84, -8
	v_cmp_le_i32_e32 vcc, v1, v34
	s_addc_u32 s85, s85, -1
	v_xor_b32_e32 v51, 0x80000000, v55
	v_mov_b32_e32 v50, v54
	s_or_b64 s[82:83], vcc, s[82:83]
	s_waitcnt vmcnt(0)
	v_add_f64 v[66:67], v[66:67], -v[38:39]
	v_add_f64 v[38:39], v[64:65], -v[66:67]
	v_mul_f64 v[38:39], v[54:55], v[38:39]
	v_fma_f64 v[42:43], v[40:41], v[42:43], -v[38:39]
	v_mul_f64 v[38:39], v[42:43], -v[54:55]
	v_fma_f64 v[64:65], v[42:43], -v[54:55], v[66:67]
	v_fma_f64 v[40:41], v[52:53], v[42:43], -v[40:41]
	v_mov_b64_e32 v[42:43], v[52:53]
	global_store_dwordx2 v[48:49], v[64:65], off
	global_store_dwordx2 v[46:47], v[52:53], off
	;; [unrolled: 1-line block ×3, first 2 shown]
	s_andn2_b64 exec, exec, s[82:83]
	s_cbranch_execz .LBB12_94
.LBB12_81:                              ;   Parent Loop BB12_7 Depth=1
                                        ;     Parent Loop BB12_55 Depth=2
                                        ; =>    This Inner Loop Header: Depth=3
	v_lshl_add_u64 v[48:49], s[84:85], 0, v[44:45]
	global_load_dwordx2 v[46:47], v[48:49], off
	v_mov_b64_e32 v[54:55], 0
	v_mov_b64_e32 v[52:53], 1.0
	s_waitcnt vmcnt(0)
	v_mul_f64 v[50:51], v[50:51], v[46:47]
	v_cmp_neq_f64_e32 vcc, 0, v[50:51]
	s_and_saveexec_b64 s[92:93], vcc
	s_cbranch_execz .LBB12_91
; %bb.82:                               ;   in Loop: Header=BB12_81 Depth=3
	v_cmp_neq_f64_e32 vcc, 0, v[40:41]
	v_xor_b32_e32 v57, 0x80000000, v51
	v_mov_b32_e32 v56, v50
                                        ; implicit-def: $vgpr54_vgpr55
                                        ; implicit-def: $vgpr52_vgpr53
	s_and_saveexec_b64 s[94:95], vcc
	s_xor_b64 s[94:95], exec, s[94:95]
	s_cbranch_execz .LBB12_88
; %bb.83:                               ;   in Loop: Header=BB12_81 Depth=3
	v_cmp_ngt_f64_e64 s[96:97], |v[50:51]|, |v[40:41]|
                                        ; implicit-def: $vgpr54_vgpr55
                                        ; implicit-def: $vgpr52_vgpr53
	s_and_saveexec_b64 vcc, s[96:97]
	s_xor_b64 s[96:97], exec, vcc
	s_cbranch_execz .LBB12_85
; %bb.84:                               ;   in Loop: Header=BB12_81 Depth=3
	v_div_scale_f64 v[52:53], s[56:57], v[40:41], v[40:41], -v[50:51]
	v_rcp_f64_e32 v[54:55], v[52:53]
	v_div_scale_f64 v[56:57], vcc, -v[50:51], v[40:41], -v[50:51]
	v_fma_f64 v[64:65], -v[52:53], v[54:55], 1.0
	v_fmac_f64_e32 v[54:55], v[54:55], v[64:65]
	v_fma_f64 v[64:65], -v[52:53], v[54:55], 1.0
	v_fmac_f64_e32 v[54:55], v[54:55], v[64:65]
	v_mul_f64 v[64:65], v[56:57], v[54:55]
	v_fma_f64 v[52:53], -v[52:53], v[64:65], v[56:57]
	v_div_fmas_f64 v[52:53], v[52:53], v[54:55], v[64:65]
	v_div_fixup_f64 v[54:55], v[52:53], v[40:41], -v[50:51]
	v_fma_f64 v[52:53], v[54:55], v[54:55], 1.0
	v_cmp_gt_f64_e32 vcc, s[72:73], v[52:53]
	s_nop 1
	v_cndmask_b32_e32 v1, 0, v58, vcc
	v_ldexp_f64 v[52:53], v[52:53], v1
	v_rsq_f64_e32 v[56:57], v[52:53]
	v_cndmask_b32_e32 v1, 0, v59, vcc
	v_cmp_class_f64_e32 vcc, v[52:53], v5
	v_mul_f64 v[64:65], v[52:53], v[56:57]
	v_mul_f64 v[56:57], v[56:57], 0.5
	v_fma_f64 v[66:67], -v[56:57], v[64:65], 0.5
	v_fmac_f64_e32 v[64:65], v[64:65], v[66:67]
	v_fma_f64 v[68:69], -v[64:65], v[64:65], v[52:53]
	v_fmac_f64_e32 v[56:57], v[56:57], v[66:67]
	v_fmac_f64_e32 v[64:65], v[68:69], v[56:57]
	v_fma_f64 v[66:67], -v[64:65], v[64:65], v[52:53]
	v_fmac_f64_e32 v[64:65], v[66:67], v[56:57]
	v_ldexp_f64 v[56:57], v[64:65], v1
	v_cndmask_b32_e32 v53, v57, v53, vcc
	v_cndmask_b32_e32 v52, v56, v52, vcc
	v_div_scale_f64 v[56:57], s[56:57], v[52:53], v[52:53], 1.0
	v_rcp_f64_e32 v[64:65], v[56:57]
	s_nop 0
	v_fma_f64 v[66:67], -v[56:57], v[64:65], 1.0
	v_fmac_f64_e32 v[64:65], v[64:65], v[66:67]
	v_fma_f64 v[66:67], -v[56:57], v[64:65], 1.0
	v_fmac_f64_e32 v[64:65], v[64:65], v[66:67]
	v_div_scale_f64 v[66:67], vcc, 1.0, v[52:53], 1.0
	v_mul_f64 v[68:69], v[66:67], v[64:65]
	v_fma_f64 v[56:57], -v[56:57], v[68:69], v[66:67]
	s_nop 1
	v_div_fmas_f64 v[56:57], v[56:57], v[64:65], v[68:69]
	v_div_fixup_f64 v[52:53], v[56:57], v[52:53], 1.0
	v_mul_f64 v[54:55], v[54:55], v[52:53]
.LBB12_85:                              ;   in Loop: Header=BB12_81 Depth=3
	s_andn2_saveexec_b64 s[96:97], s[96:97]
	s_cbranch_execz .LBB12_87
; %bb.86:                               ;   in Loop: Header=BB12_81 Depth=3
	v_div_scale_f64 v[52:53], s[56:57], v[50:51], v[50:51], -v[40:41]
	v_rcp_f64_e32 v[54:55], v[52:53]
	v_div_scale_f64 v[56:57], vcc, -v[40:41], v[50:51], -v[40:41]
	v_fma_f64 v[64:65], -v[52:53], v[54:55], 1.0
	v_fmac_f64_e32 v[54:55], v[54:55], v[64:65]
	v_fma_f64 v[64:65], -v[52:53], v[54:55], 1.0
	v_fmac_f64_e32 v[54:55], v[54:55], v[64:65]
	v_mul_f64 v[64:65], v[56:57], v[54:55]
	v_fma_f64 v[52:53], -v[52:53], v[64:65], v[56:57]
	v_div_fmas_f64 v[52:53], v[52:53], v[54:55], v[64:65]
	v_div_fixup_f64 v[52:53], v[52:53], v[50:51], -v[40:41]
	v_fma_f64 v[54:55], v[52:53], v[52:53], 1.0
	v_cmp_gt_f64_e32 vcc, s[72:73], v[54:55]
	s_nop 1
	v_cndmask_b32_e32 v1, 0, v58, vcc
	v_ldexp_f64 v[54:55], v[54:55], v1
	v_rsq_f64_e32 v[56:57], v[54:55]
	v_cndmask_b32_e32 v1, 0, v59, vcc
	v_cmp_class_f64_e32 vcc, v[54:55], v5
	v_mul_f64 v[64:65], v[54:55], v[56:57]
	v_mul_f64 v[56:57], v[56:57], 0.5
	v_fma_f64 v[66:67], -v[56:57], v[64:65], 0.5
	v_fmac_f64_e32 v[64:65], v[64:65], v[66:67]
	v_fma_f64 v[68:69], -v[64:65], v[64:65], v[54:55]
	v_fmac_f64_e32 v[56:57], v[56:57], v[66:67]
	v_fmac_f64_e32 v[64:65], v[68:69], v[56:57]
	v_fma_f64 v[66:67], -v[64:65], v[64:65], v[54:55]
	v_fmac_f64_e32 v[64:65], v[66:67], v[56:57]
	v_ldexp_f64 v[56:57], v[64:65], v1
	v_cndmask_b32_e32 v55, v57, v55, vcc
	v_cndmask_b32_e32 v54, v56, v54, vcc
	v_div_scale_f64 v[56:57], s[56:57], v[54:55], v[54:55], 1.0
	v_rcp_f64_e32 v[64:65], v[56:57]
	s_nop 0
	v_fma_f64 v[66:67], -v[56:57], v[64:65], 1.0
	v_fmac_f64_e32 v[64:65], v[64:65], v[66:67]
	v_fma_f64 v[66:67], -v[56:57], v[64:65], 1.0
	v_fmac_f64_e32 v[64:65], v[64:65], v[66:67]
	v_div_scale_f64 v[66:67], vcc, 1.0, v[54:55], 1.0
	v_mul_f64 v[68:69], v[66:67], v[64:65]
	v_fma_f64 v[56:57], -v[56:57], v[68:69], v[66:67]
	s_nop 1
	v_div_fmas_f64 v[56:57], v[56:57], v[64:65], v[68:69]
	v_div_fixup_f64 v[54:55], v[56:57], v[54:55], 1.0
	v_mul_f64 v[52:53], v[52:53], v[54:55]
.LBB12_87:                              ;   in Loop: Header=BB12_81 Depth=3
	s_or_b64 exec, exec, s[96:97]
	v_mul_f64 v[50:51], v[50:51], v[54:55]
	v_fma_f64 v[56:57], v[40:41], v[52:53], -v[50:51]
.LBB12_88:                              ;   in Loop: Header=BB12_81 Depth=3
	s_andn2_saveexec_b64 s[94:95], s[94:95]
; %bb.89:                               ;   in Loop: Header=BB12_81 Depth=3
	v_mov_b64_e32 v[52:53], 0
	v_mov_b64_e32 v[54:55], 1.0
; %bb.90:                               ;   in Loop: Header=BB12_81 Depth=3
	s_or_b64 exec, exec, s[94:95]
	v_mov_b64_e32 v[40:41], v[56:57]
.LBB12_91:                              ;   in Loop: Header=BB12_81 Depth=3
	s_or_b64 exec, exec, s[92:93]
	s_cmp_eq_u32 s35, 0
	s_cbranch_scc1 .LBB12_80
; %bb.92:                               ;   in Loop: Header=BB12_81 Depth=3
	global_store_dwordx2 v[48:49], v[40:41], off offset:8
	s_branch .LBB12_80
.LBB12_93:                              ;   in Loop: Header=BB12_55 Depth=2
	ds_write2_b32 v6, v0, v34 offset0:5 offset1:7
	s_cbranch_execz .LBB12_66
	s_branch .LBB12_67
.LBB12_94:                              ;   in Loop: Header=BB12_55 Depth=2
	s_or_b64 exec, exec, s[82:83]
	s_mov_b32 s92, 0x667f3bcd
	s_mov_b32 s93, 0x3ff6a09e
	ds_write_b64 v6, v[38:39]
.LBB12_95:                              ;   in Loop: Header=BB12_55 Depth=2
	s_or_b64 exec, exec, s[80:81]
	global_load_dwordx2 v[44:45], v[36:37], off
.LBB12_96:                              ;   in Loop: Header=BB12_55 Depth=2
	s_or_b64 exec, exec, s[78:79]
	s_waitcnt vmcnt(0)
	v_add_f64 v[0:1], v[44:45], -v[38:39]
	global_store_dwordx2 v[36:37], v[0:1], off
	global_store_dwordx2 v[2:3], v[40:41], off
                                        ; implicit-def: $vgpr38_vgpr39
                                        ; implicit-def: $vgpr36_vgpr37
                                        ; implicit-def: $vgpr34
                                        ; implicit-def: $vgpr44_vgpr45
.LBB12_97:                              ;   in Loop: Header=BB12_55 Depth=2
	s_andn2_saveexec_b64 s[78:79], s[6:7]
	s_cbranch_execz .LBB12_130
; %bb.98:                               ;   in Loop: Header=BB12_55 Depth=2
	v_lshl_add_u64 v[40:41], v[38:39], 3, s[46:47]
	global_load_dwordx2 v[0:1], v[36:37], off offset:8
	global_load_dwordx2 v[48:49], v[40:41], off
                                        ; implicit-def: $vgpr50_vgpr51
	s_waitcnt vmcnt(1)
	v_add_f64 v[46:47], v[44:45], -v[0:1]
	s_waitcnt vmcnt(0)
	v_add_f64 v[42:43], v[48:49], v[48:49]
	v_cmp_ngt_f64_e64 s[6:7], |v[46:47]|, |v[42:43]|
	s_and_saveexec_b64 s[80:81], s[6:7]
	s_xor_b64 s[6:7], exec, s[80:81]
	s_cbranch_execz .LBB12_104
; %bb.99:                               ;   in Loop: Header=BB12_55 Depth=2
	v_cmp_nlt_f64_e64 s[80:81], |v[46:47]|, |v[42:43]|
                                        ; implicit-def: $vgpr50_vgpr51
	s_and_saveexec_b64 s[82:83], s[80:81]
	s_xor_b64 s[80:81], exec, s[82:83]
; %bb.100:                              ;   in Loop: Header=BB12_55 Depth=2
	v_mul_f64 v[50:51], |v[42:43]|, s[92:93]
; %bb.101:                              ;   in Loop: Header=BB12_55 Depth=2
	s_andn2_saveexec_b64 s[80:81], s[80:81]
	s_cbranch_execz .LBB12_103
; %bb.102:                              ;   in Loop: Header=BB12_55 Depth=2
	v_and_b32_e32 v3, 0x7fffffff, v47
	v_mov_b32_e32 v2, v46
	v_and_b32_e32 v51, 0x7fffffff, v43
	v_mov_b32_e32 v50, v42
	v_div_scale_f64 v[52:53], s[82:83], v[50:51], v[50:51], v[2:3]
	v_rcp_f64_e32 v[54:55], v[52:53]
	v_div_scale_f64 v[2:3], vcc, v[2:3], v[50:51], v[2:3]
	v_fma_f64 v[56:57], -v[52:53], v[54:55], 1.0
	v_fmac_f64_e32 v[54:55], v[54:55], v[56:57]
	v_fma_f64 v[56:57], -v[52:53], v[54:55], 1.0
	v_fmac_f64_e32 v[54:55], v[54:55], v[56:57]
	v_mul_f64 v[50:51], v[2:3], v[54:55]
	v_fma_f64 v[2:3], -v[52:53], v[50:51], v[2:3]
	v_div_fmas_f64 v[2:3], v[2:3], v[54:55], v[50:51]
	v_div_fixup_f64 v[2:3], v[2:3], |v[42:43]|, |v[46:47]|
	v_fma_f64 v[2:3], v[2:3], v[2:3], 1.0
	v_cmp_gt_f64_e32 vcc, s[72:73], v[2:3]
	s_nop 1
	v_cndmask_b32_e32 v35, 0, v58, vcc
	v_ldexp_f64 v[2:3], v[2:3], v35
	v_rsq_f64_e32 v[50:51], v[2:3]
	v_cndmask_b32_e32 v35, 0, v59, vcc
	v_cmp_class_f64_e32 vcc, v[2:3], v5
	v_mul_f64 v[52:53], v[2:3], v[50:51]
	v_mul_f64 v[50:51], v[50:51], 0.5
	v_fma_f64 v[54:55], -v[50:51], v[52:53], 0.5
	v_fmac_f64_e32 v[52:53], v[52:53], v[54:55]
	v_fma_f64 v[56:57], -v[52:53], v[52:53], v[2:3]
	v_fmac_f64_e32 v[50:51], v[50:51], v[54:55]
	v_fmac_f64_e32 v[52:53], v[56:57], v[50:51]
	v_fma_f64 v[54:55], -v[52:53], v[52:53], v[2:3]
	v_fmac_f64_e32 v[52:53], v[54:55], v[50:51]
	v_ldexp_f64 v[50:51], v[52:53], v35
	v_cndmask_b32_e32 v3, v51, v3, vcc
	v_cndmask_b32_e32 v2, v50, v2, vcc
	v_mul_f64 v[50:51], |v[42:43]|, v[2:3]
.LBB12_103:                             ;   in Loop: Header=BB12_55 Depth=2
	s_or_b64 exec, exec, s[80:81]
.LBB12_104:                             ;   in Loop: Header=BB12_55 Depth=2
	s_andn2_saveexec_b64 s[6:7], s[6:7]
	s_cbranch_execz .LBB12_106
; %bb.105:                              ;   in Loop: Header=BB12_55 Depth=2
	v_and_b32_e32 v3, 0x7fffffff, v43
	v_mov_b32_e32 v2, v42
	v_and_b32_e32 v51, 0x7fffffff, v47
	v_mov_b32_e32 v50, v46
	v_div_scale_f64 v[52:53], s[80:81], v[50:51], v[50:51], v[2:3]
	v_rcp_f64_e32 v[54:55], v[52:53]
	v_div_scale_f64 v[2:3], vcc, v[2:3], v[50:51], v[2:3]
	v_fma_f64 v[56:57], -v[52:53], v[54:55], 1.0
	v_fmac_f64_e32 v[54:55], v[54:55], v[56:57]
	v_fma_f64 v[56:57], -v[52:53], v[54:55], 1.0
	v_fmac_f64_e32 v[54:55], v[54:55], v[56:57]
	v_mul_f64 v[50:51], v[2:3], v[54:55]
	v_fma_f64 v[2:3], -v[52:53], v[50:51], v[2:3]
	v_div_fmas_f64 v[2:3], v[2:3], v[54:55], v[50:51]
	v_div_fixup_f64 v[2:3], v[2:3], |v[46:47]|, |v[42:43]|
	v_fma_f64 v[2:3], v[2:3], v[2:3], 1.0
	v_cmp_gt_f64_e32 vcc, s[72:73], v[2:3]
	s_nop 1
	v_cndmask_b32_e32 v35, 0, v58, vcc
	v_ldexp_f64 v[2:3], v[2:3], v35
	v_rsq_f64_e32 v[50:51], v[2:3]
	v_cndmask_b32_e32 v35, 0, v59, vcc
	v_cmp_class_f64_e32 vcc, v[2:3], v5
	v_mul_f64 v[52:53], v[2:3], v[50:51]
	v_mul_f64 v[50:51], v[50:51], 0.5
	v_fma_f64 v[54:55], -v[50:51], v[52:53], 0.5
	v_fmac_f64_e32 v[52:53], v[52:53], v[54:55]
	v_fma_f64 v[56:57], -v[52:53], v[52:53], v[2:3]
	v_fmac_f64_e32 v[50:51], v[50:51], v[54:55]
	v_fmac_f64_e32 v[52:53], v[56:57], v[50:51]
	v_fma_f64 v[54:55], -v[52:53], v[52:53], v[2:3]
	v_fmac_f64_e32 v[52:53], v[54:55], v[50:51]
	v_ldexp_f64 v[50:51], v[52:53], v35
	v_cndmask_b32_e32 v3, v51, v3, vcc
	v_cndmask_b32_e32 v2, v50, v2, vcc
	v_mul_f64 v[50:51], |v[46:47]|, v[2:3]
.LBB12_106:                             ;   in Loop: Header=BB12_55 Depth=2
	s_or_b64 exec, exec, s[6:7]
	v_add_f64 v[54:55], v[44:45], v[0:1]
	v_cmp_gt_f64_e64 vcc, |v[44:45]|, |v[0:1]|
	s_nop 1
	v_cndmask_b32_e32 v53, v45, v1, vcc
	v_cndmask_b32_e32 v52, v44, v0, vcc
	;; [unrolled: 1-line block ×4, first 2 shown]
	v_cmp_ngt_f64_e32 vcc, 0, v[54:55]
                                        ; implicit-def: $vgpr2_vgpr3
	s_and_saveexec_b64 s[6:7], vcc
	s_xor_b64 s[6:7], exec, s[6:7]
	s_cbranch_execz .LBB12_112
; %bb.107:                              ;   in Loop: Header=BB12_55 Depth=2
	v_cmp_nlt_f64_e32 vcc, 0, v[54:55]
                                        ; implicit-def: $vgpr2_vgpr3
	s_and_saveexec_b64 s[80:81], vcc
	s_xor_b64 s[80:81], exec, s[80:81]
; %bb.108:                              ;   in Loop: Header=BB12_55 Depth=2
	v_mul_f64 v[0:1], v[50:51], 0.5
	v_mul_f64 v[2:3], v[50:51], -0.5
                                        ; implicit-def: $vgpr54_vgpr55
                                        ; implicit-def: $vgpr44_vgpr45
                                        ; implicit-def: $vgpr48_vgpr49
                                        ; implicit-def: $vgpr52_vgpr53
; %bb.109:                              ;   in Loop: Header=BB12_55 Depth=2
	s_andn2_saveexec_b64 s[80:81], s[80:81]
	s_cbranch_execz .LBB12_111
; %bb.110:                              ;   in Loop: Header=BB12_55 Depth=2
	v_add_f64 v[0:1], v[54:55], v[50:51]
	v_mul_f64 v[0:1], v[0:1], 0.5
	v_div_scale_f64 v[2:3], s[82:83], v[0:1], v[0:1], v[44:45]
	v_rcp_f64_e32 v[54:55], v[2:3]
	v_div_scale_f64 v[56:57], vcc, v[44:45], v[0:1], v[44:45]
	v_fma_f64 v[64:65], -v[2:3], v[54:55], 1.0
	v_fmac_f64_e32 v[54:55], v[54:55], v[64:65]
	v_fma_f64 v[64:65], -v[2:3], v[54:55], 1.0
	v_fmac_f64_e32 v[54:55], v[54:55], v[64:65]
	v_mul_f64 v[64:65], v[56:57], v[54:55]
	v_fma_f64 v[2:3], -v[2:3], v[64:65], v[56:57]
	v_div_scale_f64 v[56:57], s[82:83], v[0:1], v[0:1], v[48:49]
	v_rcp_f64_e32 v[66:67], v[56:57]
	v_div_fmas_f64 v[2:3], v[2:3], v[54:55], v[64:65]
	v_div_fixup_f64 v[2:3], v[2:3], v[0:1], v[44:45]
	v_fma_f64 v[44:45], -v[56:57], v[66:67], 1.0
	v_fmac_f64_e32 v[66:67], v[66:67], v[44:45]
	v_fma_f64 v[44:45], -v[56:57], v[66:67], 1.0
	v_fmac_f64_e32 v[66:67], v[66:67], v[44:45]
	v_div_scale_f64 v[44:45], vcc, v[48:49], v[0:1], v[48:49]
	v_mul_f64 v[54:55], v[44:45], v[66:67]
	v_fma_f64 v[44:45], -v[56:57], v[54:55], v[44:45]
	s_nop 1
	v_div_fmas_f64 v[44:45], v[44:45], v[66:67], v[54:55]
	v_div_fixup_f64 v[44:45], v[44:45], v[0:1], v[48:49]
	v_mul_f64 v[44:45], v[48:49], v[44:45]
	v_fma_f64 v[2:3], v[52:53], v[2:3], -v[44:45]
.LBB12_111:                             ;   in Loop: Header=BB12_55 Depth=2
	s_or_b64 exec, exec, s[80:81]
                                        ; implicit-def: $vgpr54_vgpr55
                                        ; implicit-def: $vgpr44_vgpr45
                                        ; implicit-def: $vgpr48_vgpr49
                                        ; implicit-def: $vgpr52_vgpr53
.LBB12_112:                             ;   in Loop: Header=BB12_55 Depth=2
	s_or_saveexec_b64 s[6:7], s[6:7]
	v_mov_b32_e32 v35, 1
	s_xor_b64 exec, exec, s[6:7]
	s_cbranch_execz .LBB12_114
; %bb.113:                              ;   in Loop: Header=BB12_55 Depth=2
	v_add_f64 v[0:1], v[54:55], -v[50:51]
	v_mul_f64 v[0:1], v[0:1], 0.5
	v_div_scale_f64 v[2:3], s[80:81], v[0:1], v[0:1], v[44:45]
	v_rcp_f64_e32 v[54:55], v[2:3]
	v_div_scale_f64 v[56:57], vcc, v[44:45], v[0:1], v[44:45]
	v_mov_b32_e32 v35, -1
	v_fma_f64 v[64:65], -v[2:3], v[54:55], 1.0
	v_fmac_f64_e32 v[54:55], v[54:55], v[64:65]
	v_fma_f64 v[64:65], -v[2:3], v[54:55], 1.0
	v_fmac_f64_e32 v[54:55], v[54:55], v[64:65]
	v_mul_f64 v[64:65], v[56:57], v[54:55]
	v_fma_f64 v[2:3], -v[2:3], v[64:65], v[56:57]
	v_div_scale_f64 v[56:57], s[80:81], v[0:1], v[0:1], v[48:49]
	v_rcp_f64_e32 v[66:67], v[56:57]
	v_div_fmas_f64 v[2:3], v[2:3], v[54:55], v[64:65]
	v_div_fixup_f64 v[2:3], v[2:3], v[0:1], v[44:45]
	v_fma_f64 v[44:45], -v[56:57], v[66:67], 1.0
	v_fmac_f64_e32 v[66:67], v[66:67], v[44:45]
	v_fma_f64 v[44:45], -v[56:57], v[66:67], 1.0
	v_fmac_f64_e32 v[66:67], v[66:67], v[44:45]
	v_div_scale_f64 v[44:45], vcc, v[48:49], v[0:1], v[48:49]
	v_mul_f64 v[54:55], v[44:45], v[66:67]
	v_fma_f64 v[44:45], -v[56:57], v[54:55], v[44:45]
	s_nop 1
	v_div_fmas_f64 v[44:45], v[44:45], v[66:67], v[54:55]
	v_div_fixup_f64 v[44:45], v[44:45], v[0:1], v[48:49]
	v_mul_f64 v[44:45], v[48:49], v[44:45]
	v_fma_f64 v[2:3], v[52:53], v[2:3], -v[44:45]
.LBB12_114:                             ;   in Loop: Header=BB12_55 Depth=2
	s_or_b64 exec, exec, s[6:7]
	v_xor_b32_e32 v44, 0x80000000, v51
	v_cmp_nle_f64_e64 s[6:7], 0, v[46:47]
                                        ; implicit-def: $vgpr48_vgpr49
	s_nop 1
	v_cndmask_b32_e64 v51, v51, v44, s[6:7]
	v_add_f64 v[44:45], v[46:47], v[50:51]
	v_cmp_ngt_f64_e64 s[80:81], |v[44:45]|, |v[42:43]|
                                        ; implicit-def: $vgpr46_vgpr47
	s_and_saveexec_b64 s[82:83], s[80:81]
	s_xor_b64 s[80:81], exec, s[82:83]
	s_cbranch_execz .LBB12_118
; %bb.115:                              ;   in Loop: Header=BB12_55 Depth=2
	v_mov_b64_e32 v[46:47], 0
	v_cmp_neq_f64_e32 vcc, 0, v[42:43]
	v_mov_b64_e32 v[48:49], 1.0
	s_and_saveexec_b64 s[82:83], vcc
	s_cbranch_execz .LBB12_117
; %bb.116:                              ;   in Loop: Header=BB12_55 Depth=2
	v_div_scale_f64 v[46:47], s[84:85], v[42:43], v[42:43], -v[44:45]
	v_rcp_f64_e32 v[48:49], v[46:47]
	v_div_scale_f64 v[50:51], vcc, -v[44:45], v[42:43], -v[44:45]
	v_fma_f64 v[52:53], -v[46:47], v[48:49], 1.0
	v_fmac_f64_e32 v[48:49], v[48:49], v[52:53]
	v_fma_f64 v[52:53], -v[46:47], v[48:49], 1.0
	v_fmac_f64_e32 v[48:49], v[48:49], v[52:53]
	v_mul_f64 v[52:53], v[50:51], v[48:49]
	v_fma_f64 v[46:47], -v[46:47], v[52:53], v[50:51]
	v_div_fmas_f64 v[46:47], v[46:47], v[48:49], v[52:53]
	v_div_fixup_f64 v[42:43], v[46:47], v[42:43], -v[44:45]
	v_fma_f64 v[44:45], v[42:43], v[42:43], 1.0
	v_cmp_gt_f64_e32 vcc, s[72:73], v[44:45]
	s_nop 1
	v_cndmask_b32_e32 v46, 0, v58, vcc
	v_ldexp_f64 v[44:45], v[44:45], v46
	v_rsq_f64_e32 v[46:47], v[44:45]
	s_nop 0
	v_mul_f64 v[48:49], v[44:45], v[46:47]
	v_mul_f64 v[46:47], v[46:47], 0.5
	v_fma_f64 v[50:51], -v[46:47], v[48:49], 0.5
	v_fmac_f64_e32 v[48:49], v[48:49], v[50:51]
	v_fma_f64 v[52:53], -v[48:49], v[48:49], v[44:45]
	v_fmac_f64_e32 v[46:47], v[46:47], v[50:51]
	v_fmac_f64_e32 v[48:49], v[52:53], v[46:47]
	v_fma_f64 v[50:51], -v[48:49], v[48:49], v[44:45]
	v_fmac_f64_e32 v[48:49], v[50:51], v[46:47]
	v_cndmask_b32_e32 v46, 0, v59, vcc
	v_ldexp_f64 v[46:47], v[48:49], v46
	v_cmp_class_f64_e32 vcc, v[44:45], v5
	s_nop 1
	v_cndmask_b32_e32 v45, v47, v45, vcc
	v_cndmask_b32_e32 v44, v46, v44, vcc
	v_div_scale_f64 v[46:47], s[84:85], v[44:45], v[44:45], 1.0
	v_rcp_f64_e32 v[48:49], v[46:47]
	s_nop 0
	v_fma_f64 v[50:51], -v[46:47], v[48:49], 1.0
	v_fmac_f64_e32 v[48:49], v[48:49], v[50:51]
	v_fma_f64 v[50:51], -v[46:47], v[48:49], 1.0
	v_fmac_f64_e32 v[48:49], v[48:49], v[50:51]
	v_div_scale_f64 v[50:51], vcc, 1.0, v[44:45], 1.0
	v_mul_f64 v[52:53], v[50:51], v[48:49]
	v_fma_f64 v[46:47], -v[46:47], v[52:53], v[50:51]
	s_nop 1
	v_div_fmas_f64 v[46:47], v[46:47], v[48:49], v[52:53]
	v_div_fixup_f64 v[48:49], v[46:47], v[44:45], 1.0
	v_mul_f64 v[46:47], v[42:43], v[48:49]
.LBB12_117:                             ;   in Loop: Header=BB12_55 Depth=2
	s_or_b64 exec, exec, s[82:83]
                                        ; implicit-def: $vgpr44_vgpr45
                                        ; implicit-def: $vgpr42_vgpr43
.LBB12_118:                             ;   in Loop: Header=BB12_55 Depth=2
	s_andn2_saveexec_b64 s[80:81], s[80:81]
	s_cbranch_execz .LBB12_120
; %bb.119:                              ;   in Loop: Header=BB12_55 Depth=2
	v_div_scale_f64 v[46:47], s[82:83], v[44:45], v[44:45], -v[42:43]
	v_rcp_f64_e32 v[48:49], v[46:47]
	v_div_scale_f64 v[50:51], vcc, -v[42:43], v[44:45], -v[42:43]
	v_fma_f64 v[52:53], -v[46:47], v[48:49], 1.0
	v_fmac_f64_e32 v[48:49], v[48:49], v[52:53]
	v_fma_f64 v[52:53], -v[46:47], v[48:49], 1.0
	v_fmac_f64_e32 v[48:49], v[48:49], v[52:53]
	v_mul_f64 v[52:53], v[50:51], v[48:49]
	v_fma_f64 v[46:47], -v[46:47], v[52:53], v[50:51]
	v_div_fmas_f64 v[46:47], v[46:47], v[48:49], v[52:53]
	v_div_fixup_f64 v[42:43], v[46:47], v[44:45], -v[42:43]
	v_fma_f64 v[44:45], v[42:43], v[42:43], 1.0
	v_cmp_gt_f64_e32 vcc, s[72:73], v[44:45]
	s_nop 1
	v_cndmask_b32_e32 v46, 0, v58, vcc
	v_ldexp_f64 v[44:45], v[44:45], v46
	v_rsq_f64_e32 v[46:47], v[44:45]
	s_nop 0
	v_mul_f64 v[48:49], v[44:45], v[46:47]
	v_mul_f64 v[46:47], v[46:47], 0.5
	v_fma_f64 v[50:51], -v[46:47], v[48:49], 0.5
	v_fmac_f64_e32 v[48:49], v[48:49], v[50:51]
	v_fma_f64 v[52:53], -v[48:49], v[48:49], v[44:45]
	v_fmac_f64_e32 v[46:47], v[46:47], v[50:51]
	v_fmac_f64_e32 v[48:49], v[52:53], v[46:47]
	v_fma_f64 v[50:51], -v[48:49], v[48:49], v[44:45]
	v_fmac_f64_e32 v[48:49], v[50:51], v[46:47]
	v_cndmask_b32_e32 v46, 0, v59, vcc
	v_ldexp_f64 v[46:47], v[48:49], v46
	v_cmp_class_f64_e32 vcc, v[44:45], v5
	s_nop 1
	v_cndmask_b32_e32 v45, v47, v45, vcc
	v_cndmask_b32_e32 v44, v46, v44, vcc
	v_div_scale_f64 v[46:47], s[82:83], v[44:45], v[44:45], 1.0
	v_rcp_f64_e32 v[48:49], v[46:47]
	s_nop 0
	v_fma_f64 v[50:51], -v[46:47], v[48:49], 1.0
	v_fmac_f64_e32 v[48:49], v[48:49], v[50:51]
	v_fma_f64 v[50:51], -v[46:47], v[48:49], 1.0
	v_fmac_f64_e32 v[48:49], v[48:49], v[50:51]
	v_div_scale_f64 v[50:51], vcc, 1.0, v[44:45], 1.0
	v_mul_f64 v[52:53], v[50:51], v[48:49]
	v_fma_f64 v[46:47], -v[46:47], v[52:53], v[50:51]
	s_nop 1
	v_div_fmas_f64 v[46:47], v[46:47], v[48:49], v[52:53]
	v_div_fixup_f64 v[46:47], v[46:47], v[44:45], 1.0
	v_mul_f64 v[48:49], v[42:43], v[46:47]
.LBB12_120:                             ;   in Loop: Header=BB12_55 Depth=2
	s_or_b64 exec, exec, s[80:81]
	v_cndmask_b32_e64 v42, 1, -1, s[6:7]
	v_xor_b32_e32 v44, 0x80000000, v47
	v_cmp_eq_u32_e32 vcc, v35, v42
	v_lshl_add_u64 v[38:39], v[38:39], 3, s[48:49]
	s_nop 0
	v_cndmask_b32_e32 v45, v49, v44, vcc
	v_cndmask_b32_e32 v44, v48, v46, vcc
	;; [unrolled: 1-line block ×4, first 2 shown]
	global_store_dwordx2 v[38:39], v[44:45], off
	v_lshl_add_u64 v[38:39], s[10:11], 3, v[38:39]
	global_store_dwordx2 v[38:39], v[42:43], off offset:-8
	global_store_dwordx4 v[36:37], v[0:3], off
	global_store_dwordx2 v[40:41], v[6:7], off
	s_nop 0
	v_add_u32_e32 v0, 2, v34
	ds_write_b32 v6, v0 offset:16
	s_or_b64 exec, exec, s[78:79]
                                        ; implicit-def: $vgpr1
.LBB12_121:                             ;   in Loop: Header=BB12_55 Depth=2
	s_andn2_saveexec_b64 s[6:7], s[76:77]
.LBB12_122:                             ;   in Loop: Header=BB12_55 Depth=2
	ds_write_b32 v6, v1 offset:16
.LBB12_123:                             ;   in Loop: Header=BB12_55 Depth=2
	s_or_b64 exec, exec, s[6:7]
.LBB12_124:                             ;   in Loop: Header=BB12_55 Depth=2
	s_or_b64 exec, exec, s[0:1]
	s_waitcnt lgkmcnt(0)
	s_barrier
	ds_read_b64 v[0:1], v6 offset:16
	s_waitcnt lgkmcnt(0)
	v_readfirstlane_b32 s35, v1
	s_nop 1
	v_cmp_eq_u32_e32 vcc, s35, v0
	v_mov_b32_e32 v34, s35
	s_cbranch_vccnz .LBB12_54
; %bb.125:                              ;   in Loop: Header=BB12_55 Depth=2
	s_and_saveexec_b64 s[0:1], s[2:3]
	s_cbranch_execz .LBB12_53
; %bb.126:                              ;   in Loop: Header=BB12_55 Depth=2
	ds_read_b32 v0, v6 offset:28
	v_mov_b32_e32 v34, v4
	s_waitcnt lgkmcnt(0)
	v_readfirstlane_b32 s41, v0
	s_mul_i32 s6, s41, s15
	s_ashr_i32 s7, s6, 31
	s_lshl_b64 s[56:57], s[6:7], 3
	s_add_u32 s6, s14, s56
	s_addc_u32 s7, s98, s57
	s_sub_i32 s35, s35, s41
	s_mul_hi_i32 s77, s35, s50
	s_mul_i32 s76, s35, s50
	s_lshl_b64 s[76:77], s[76:77], 3
	s_add_u32 s76, s6, s76
	s_addc_u32 s77, s7, s77
	s_cmp_gt_i32 s35, 0
	s_cselect_b64 s[78:79], -1, 0
	s_add_i32 s70, s35, -1
	s_mul_i32 s41, s65, s70
	s_mul_hi_u32 s75, s64, s70
	v_ashrrev_i32_e32 v1, 31, v0
	s_lshl_b64 s[80:81], s[70:71], 3
	s_add_i32 s75, s75, s41
	s_mul_i32 s41, s64, s70
	v_lshlrev_b64 v[0:1], 3, v[0:1]
	s_add_u32 s56, s41, s56
	v_lshl_add_u64 v[0:1], v[0:1], 0, s[80:81]
	s_addc_u32 s57, s75, s57
	v_lshl_add_u64 v[0:1], s[48:49], 0, v[0:1]
	v_lshl_add_u64 v[2:3], v[10:11], 0, s[56:57]
	s_mov_b64 s[80:81], 0
	s_branch .LBB12_128
.LBB12_127:                             ;   in Loop: Header=BB12_128 Depth=3
	v_add_u32_e32 v34, s34, v34
	v_cmp_le_i32_e32 vcc, s10, v34
	s_or_b64 s[80:81], vcc, s[80:81]
	v_lshl_add_u64 v[2:3], v[2:3], 0, s[54:55]
	s_waitcnt vmcnt(0)
	global_store_dwordx2 v[36:37], v[42:43], off
	s_andn2_b64 exec, exec, s[80:81]
	s_cbranch_execz .LBB12_53
.LBB12_128:                             ;   Parent Loop BB12_7 Depth=1
                                        ;     Parent Loop BB12_55 Depth=2
                                        ; =>    This Loop Header: Depth=3
                                        ;         Child Loop BB12_129 Depth 4
	v_ashrrev_i32_e32 v35, 31, v34
	v_lshlrev_b64 v[36:37], 3, v[34:35]
	v_lshl_add_u64 v[38:39], s[76:77], 0, v[36:37]
	global_load_dwordx2 v[42:43], v[38:39], off
	v_lshl_add_u64 v[36:37], s[6:7], 0, v[36:37]
	s_andn2_b64 vcc, exec, s[78:79]
	v_mov_b64_e32 v[38:39], v[2:3]
	v_mov_b64_e32 v[40:41], v[0:1]
	s_mov_b32 s41, s35
	s_cbranch_vccnz .LBB12_127
.LBB12_129:                             ;   Parent Loop BB12_7 Depth=1
                                        ;     Parent Loop BB12_55 Depth=2
                                        ;       Parent Loop BB12_128 Depth=3
                                        ; =>      This Inner Loop Header: Depth=4
	v_lshl_add_u64 v[44:45], v[40:41], 0, s[62:63]
	global_load_dwordx2 v[46:47], v[38:39], off
	s_nop 0
	global_load_dwordx2 v[44:45], v[44:45], off
	s_nop 0
	global_load_dwordx2 v[48:49], v[40:41], off
	s_mul_i32 s57, s41, s51
	s_mul_hi_u32 s75, s41, s50
	s_add_i32 s70, s41, -1
	s_waitcnt vmcnt(3)
	v_mov_b64_e32 v[50:51], v[42:43]
	s_mul_i32 s56, s41, s50
	s_add_i32 s57, s75, s57
	v_lshl_add_u64 v[40:41], v[40:41], 0, -8
	v_lshl_add_u64 v[38:39], v[38:39], 0, s[66:67]
	s_mov_b32 s41, s70
	v_lshl_add_u64 v[52:53], s[56:57], 3, v[36:37]
	s_cmp_eq_u32 s70, 0
	s_waitcnt vmcnt(0)
	v_mul_f64 v[42:43], v[48:49], v[46:47]
	v_mul_f64 v[46:47], v[44:45], v[46:47]
	v_fmac_f64_e32 v[42:43], v[50:51], v[44:45]
	v_fma_f64 v[44:45], v[50:51], v[48:49], -v[46:47]
	global_store_dwordx2 v[52:53], v[44:45], off
	s_cbranch_scc0 .LBB12_129
	s_branch .LBB12_127
.LBB12_130:                             ;   in Loop: Header=BB12_55 Depth=2
	s_or_b64 exec, exec, s[78:79]
                                        ; implicit-def: $vgpr1
	s_andn2_saveexec_b64 s[6:7], s[76:77]
	s_cbranch_execnz .LBB12_122
	s_branch .LBB12_123
.LBB12_131:                             ;   in Loop: Header=BB12_133 Depth=2
	s_or_b64 exec, exec, s[0:1]
	s_barrier
	ds_read_b32 v26, v6 offset:16
.LBB12_132:                             ;   in Loop: Header=BB12_133 Depth=2
	ds_read_b64 v[28:29], v6 offset:32
	s_waitcnt lgkmcnt(0)
	v_cmp_ge_i32_e32 vcc, v26, v28
	v_cmp_gt_i32_e64 s[0:1], s33, v29
	s_and_b64 s[0:1], vcc, s[0:1]
	s_andn2_b64 vcc, exec, s[0:1]
	s_cbranch_vccnz .LBB12_210
.LBB12_133:                             ;   Parent Loop BB12_7 Depth=1
                                        ; =>  This Loop Header: Depth=2
                                        ;       Child Loop BB12_139 Depth 3
                                        ;       Child Loop BB12_159 Depth 3
                                        ;       Child Loop BB12_206 Depth 3
                                        ;         Child Loop BB12_207 Depth 4
	s_and_saveexec_b64 s[0:1], s[8:9]
	s_cbranch_execz .LBB12_202
; %bb.134:                              ;   in Loop: Header=BB12_133 Depth=2
	v_cmp_gt_i32_e32 vcc, v26, v28
	s_mov_b64 s[4:5], 0
	s_cbranch_vccnz .LBB12_136
; %bb.135:                              ;   in Loop: Header=BB12_133 Depth=2
	v_ashrrev_i32_e32 v27, 31, v26
	s_mov_b64 s[6:7], -1
	v_mov_b64_e32 v[34:35], v[26:27]
	v_mov_b32_e32 v30, v26
	s_cbranch_execz .LBB12_137
	s_branch .LBB12_142
.LBB12_136:                             ;   in Loop: Header=BB12_133 Depth=2
                                        ; implicit-def: $vgpr34_vgpr35
	s_mov_b64 s[6:7], 0
	v_mov_b32_e32 v30, v26
.LBB12_137:                             ;   in Loop: Header=BB12_133 Depth=2
	v_ashrrev_i32_e32 v27, 31, v26
	v_lshlrev_b64 v[0:1], 3, v[26:27]
	v_lshl_add_u64 v[12:13], s[46:47], 0, v[0:1]
	v_lshl_add_u64 v[0:1], s[68:69], 0, v[0:1]
	v_mov_b32_e32 v2, v26
	s_branch .LBB12_139
.LBB12_138:                             ;   in Loop: Header=BB12_139 Depth=3
	v_add_u32_e32 v2, -1, v61
	v_lshl_add_u64 v[0:1], v[0:1], 0, -8
	s_mov_b64 s[4:5], 0
	v_cmp_le_i32_e64 s[6:7], v2, v28
	s_andn2_b64 vcc, exec, s[6:7]
	v_lshl_add_u64 v[12:13], v[12:13], 0, -8
	s_cbranch_vccz .LBB12_141
.LBB12_139:                             ;   Parent Loop BB12_7 Depth=1
                                        ;     Parent Loop BB12_133 Depth=2
                                        ; =>    This Inner Loop Header: Depth=3
	global_load_dwordx2 v[18:19], v[12:13], off offset:-8
	global_load_dwordx4 v[30:33], v[0:1], off
	v_mov_b32_e32 v61, v2
	s_waitcnt vmcnt(1)
	v_mul_f64 v[2:3], v[18:19], v[18:19]
	s_waitcnt vmcnt(0)
	v_mul_f64 v[18:19], v[32:33], v[30:31]
	v_mul_f64 v[18:19], v[8:9], |v[18:19]|
	v_cmp_le_f64_e64 s[4:5], |v[2:3]|, v[18:19]
	s_and_b64 vcc, exec, s[4:5]
	s_cbranch_vccz .LBB12_138
; %bb.140:                              ;   in Loop: Header=BB12_133 Depth=2
	s_mov_b64 s[4:5], -1
                                        ; implicit-def: $vgpr2
                                        ; implicit-def: $vgpr0_vgpr1
	v_lshl_add_u64 v[12:13], v[12:13], 0, -8
.LBB12_141:                             ;   in Loop: Header=BB12_133 Depth=2
	s_xor_b64 s[6:7], s[4:5], -1
	s_mov_b64 s[4:5], -1
	v_mov_b64_e32 v[18:19], v[26:27]
	v_mov_b32_e32 v30, v28
	v_mov_b64_e32 v[34:35], v[26:27]
.LBB12_142:                             ;   in Loop: Header=BB12_133 Depth=2
	s_and_b64 vcc, exec, s[6:7]
	s_cbranch_vccnz .LBB12_171
; %bb.143:                              ;   in Loop: Header=BB12_133 Depth=2
	s_andn2_b64 vcc, exec, s[4:5]
	s_cbranch_vccnz .LBB12_145
.LBB12_144:                             ;   in Loop: Header=BB12_133 Depth=2
	v_mov_b64_e32 v[34:35], v[18:19]
	v_mov_b32_e32 v30, v61
	ds_write2_b32 v6, v61, v26 offset0:5 offset1:7
	global_store_dwordx2 v[12:13], v[6:7], off
.LBB12_145:                             ;   in Loop: Header=BB12_133 Depth=2
	v_lshl_add_u64 v[32:33], v[34:35], 3, s[22:23]
	global_load_dwordx2 v[36:37], v[32:33], off
	v_cmp_ne_u32_e32 vcc, v30, v26
	v_add_u32_e32 v0, -1, v26
	s_waitcnt vmcnt(0)
	ds_write_b64 v6, v[36:37]
	s_and_saveexec_b64 s[4:5], vcc
	s_xor_b64 s[6:7], exec, s[4:5]
	s_cbranch_execz .LBB12_199
; %bb.146:                              ;   in Loop: Header=BB12_133 Depth=2
	v_cmp_ne_u32_e32 vcc, v30, v0
	s_and_saveexec_b64 s[4:5], vcc
	s_xor_b64 s[4:5], exec, s[4:5]
	s_cbranch_execz .LBB12_175
; %bb.147:                              ;   in Loop: Header=BB12_133 Depth=2
	v_lshl_add_u64 v[0:1], v[34:35], 3, s[46:47]
	global_load_dwordx2 v[2:3], v[32:33], off offset:-8
	global_load_dwordx2 v[34:35], v[0:1], off offset:-8
	v_ashrrev_i32_e32 v31, 31, v30
	v_lshl_add_u64 v[38:39], v[30:31], 3, s[22:23]
	global_load_dwordx2 v[40:41], v[38:39], off
	v_add_u32_e32 v27, 1, v29
	ds_write_b64 v6, v[6:7]
	ds_write_b32 v6, v27 offset:36
	s_waitcnt vmcnt(2)
	v_add_f64 v[28:29], v[2:3], -v[36:37]
	s_waitcnt vmcnt(1)
	v_add_f64 v[42:43], v[34:35], v[34:35]
	v_div_scale_f64 v[44:45], s[56:57], v[42:43], v[42:43], v[28:29]
	v_rcp_f64_e32 v[46:47], v[44:45]
	v_div_scale_f64 v[48:49], vcc, v[28:29], v[42:43], v[28:29]
	v_mov_b64_e32 v[2:3], 0
	v_fma_f64 v[50:51], -v[44:45], v[46:47], 1.0
	v_fmac_f64_e32 v[46:47], v[46:47], v[50:51]
	v_fma_f64 v[50:51], -v[44:45], v[46:47], 1.0
	v_fmac_f64_e32 v[46:47], v[46:47], v[50:51]
	v_mul_f64 v[50:51], v[48:49], v[46:47]
	v_fma_f64 v[44:45], -v[44:45], v[50:51], v[48:49]
	v_div_fmas_f64 v[44:45], v[44:45], v[46:47], v[50:51]
	v_div_fixup_f64 v[28:29], v[44:45], v[42:43], v[28:29]
	v_fma_f64 v[42:43], v[28:29], v[28:29], 1.0
	v_cmp_gt_f64_e32 vcc, s[72:73], v[42:43]
	s_nop 1
	v_cndmask_b32_e32 v44, 0, v58, vcc
	v_ldexp_f64 v[42:43], v[42:43], v44
	v_rsq_f64_e32 v[44:45], v[42:43]
	v_cndmask_b32_e32 v27, 0, v59, vcc
	v_cmp_class_f64_e32 vcc, v[42:43], v5
	v_mul_f64 v[46:47], v[42:43], v[44:45]
	v_mul_f64 v[44:45], v[44:45], 0.5
	v_fma_f64 v[48:49], -v[44:45], v[46:47], 0.5
	v_fmac_f64_e32 v[46:47], v[46:47], v[48:49]
	v_fmac_f64_e32 v[44:45], v[44:45], v[48:49]
	v_fma_f64 v[48:49], -v[46:47], v[46:47], v[42:43]
	v_fmac_f64_e32 v[46:47], v[48:49], v[44:45]
	v_fma_f64 v[48:49], -v[46:47], v[46:47], v[42:43]
	v_fmac_f64_e32 v[46:47], v[48:49], v[44:45]
	v_ldexp_f64 v[44:45], v[46:47], v27
	v_cndmask_b32_e32 v27, v45, v43, vcc
	v_cndmask_b32_e32 v42, v44, v42, vcc
	v_and_b32_e32 v43, 0x7fffffff, v27
	v_or_b32_e32 v27, 0x80000000, v27
	v_cmp_nle_f64_e32 vcc, 0, v[28:29]
	s_waitcnt vmcnt(0)
	v_add_f64 v[46:47], v[40:41], -v[36:37]
	v_cndmask_b32_e32 v43, v43, v27, vcc
	v_add_f64 v[28:29], v[28:29], v[42:43]
	v_div_scale_f64 v[42:43], s[56:57], v[28:29], v[28:29], v[34:35]
	v_rcp_f64_e32 v[44:45], v[42:43]
	v_div_scale_f64 v[48:49], vcc, v[34:35], v[28:29], v[34:35]
	v_fma_f64 v[50:51], -v[42:43], v[44:45], 1.0
	v_fmac_f64_e32 v[44:45], v[44:45], v[50:51]
	v_fma_f64 v[50:51], -v[42:43], v[44:45], 1.0
	v_fmac_f64_e32 v[44:45], v[44:45], v[50:51]
	v_mul_f64 v[50:51], v[48:49], v[44:45]
	v_fma_f64 v[42:43], -v[42:43], v[50:51], v[48:49]
	v_div_fmas_f64 v[42:43], v[42:43], v[44:45], v[50:51]
	v_div_fixup_f64 v[28:29], v[42:43], v[28:29], v[34:35]
	v_add_f64 v[28:29], v[46:47], v[28:29]
	v_cmp_lt_i32_e32 vcc, v30, v26
	s_and_saveexec_b64 s[76:77], vcc
	s_cbranch_execz .LBB12_174
; %bb.148:                              ;   in Loop: Header=BB12_133 Depth=2
	v_lshl_add_u64 v[2:3], v[30:31], 3, s[46:47]
	global_load_dwordx2 v[36:37], v[2:3], off
	v_mov_b64_e32 v[42:43], 0
	v_mov_b64_e32 v[34:35], 1.0
	s_waitcnt vmcnt(0)
	v_cmp_neq_f64_e32 vcc, 0, v[36:37]
	s_and_saveexec_b64 s[78:79], vcc
	s_cbranch_execz .LBB12_156
; %bb.149:                              ;   in Loop: Header=BB12_133 Depth=2
	v_mov_b64_e32 v[34:35], 0
	v_cmp_neq_f64_e32 vcc, 0, v[28:29]
	v_mov_b64_e32 v[42:43], 1.0
	s_and_saveexec_b64 s[80:81], vcc
	s_cbranch_execz .LBB12_155
; %bb.150:                              ;   in Loop: Header=BB12_133 Depth=2
	v_cmp_ngt_f64_e64 s[56:57], |v[36:37]|, |v[28:29]|
                                        ; implicit-def: $vgpr42_vgpr43
                                        ; implicit-def: $vgpr34_vgpr35
	s_and_saveexec_b64 s[82:83], s[56:57]
	s_xor_b64 s[82:83], exec, s[82:83]
	s_cbranch_execz .LBB12_152
; %bb.151:                              ;   in Loop: Header=BB12_133 Depth=2
	v_div_scale_f64 v[2:3], s[56:57], v[28:29], v[28:29], -v[36:37]
	v_rcp_f64_e32 v[34:35], v[2:3]
	v_div_scale_f64 v[42:43], vcc, -v[36:37], v[28:29], -v[36:37]
	v_fma_f64 v[44:45], -v[2:3], v[34:35], 1.0
	v_fmac_f64_e32 v[34:35], v[34:35], v[44:45]
	v_fma_f64 v[44:45], -v[2:3], v[34:35], 1.0
	v_fmac_f64_e32 v[34:35], v[34:35], v[44:45]
	v_mul_f64 v[44:45], v[42:43], v[34:35]
	v_fma_f64 v[2:3], -v[2:3], v[44:45], v[42:43]
	v_div_fmas_f64 v[2:3], v[2:3], v[34:35], v[44:45]
	v_div_fixup_f64 v[2:3], v[2:3], v[28:29], -v[36:37]
	v_fma_f64 v[28:29], v[2:3], v[2:3], 1.0
	v_cmp_gt_f64_e32 vcc, s[72:73], v[28:29]
	s_nop 1
	v_cndmask_b32_e32 v27, 0, v58, vcc
	v_ldexp_f64 v[28:29], v[28:29], v27
	v_rsq_f64_e32 v[34:35], v[28:29]
	v_cndmask_b32_e32 v27, 0, v59, vcc
	v_cmp_class_f64_e32 vcc, v[28:29], v5
	v_mul_f64 v[42:43], v[28:29], v[34:35]
	v_mul_f64 v[34:35], v[34:35], 0.5
	v_fma_f64 v[44:45], -v[34:35], v[42:43], 0.5
	v_fmac_f64_e32 v[42:43], v[42:43], v[44:45]
	v_fma_f64 v[46:47], -v[42:43], v[42:43], v[28:29]
	v_fmac_f64_e32 v[34:35], v[34:35], v[44:45]
	v_fmac_f64_e32 v[42:43], v[46:47], v[34:35]
	v_fma_f64 v[44:45], -v[42:43], v[42:43], v[28:29]
	v_fmac_f64_e32 v[42:43], v[44:45], v[34:35]
	v_ldexp_f64 v[34:35], v[42:43], v27
	v_cndmask_b32_e32 v29, v35, v29, vcc
	v_cndmask_b32_e32 v28, v34, v28, vcc
	v_div_scale_f64 v[34:35], s[56:57], v[28:29], v[28:29], 1.0
	v_rcp_f64_e32 v[42:43], v[34:35]
	s_nop 0
	v_fma_f64 v[44:45], -v[34:35], v[42:43], 1.0
	v_fmac_f64_e32 v[42:43], v[42:43], v[44:45]
	v_fma_f64 v[44:45], -v[34:35], v[42:43], 1.0
	v_fmac_f64_e32 v[42:43], v[42:43], v[44:45]
	v_div_scale_f64 v[44:45], vcc, 1.0, v[28:29], 1.0
	v_mul_f64 v[46:47], v[44:45], v[42:43]
	v_fma_f64 v[34:35], -v[34:35], v[46:47], v[44:45]
	s_nop 1
	v_div_fmas_f64 v[34:35], v[34:35], v[42:43], v[46:47]
	v_div_fixup_f64 v[34:35], v[34:35], v[28:29], 1.0
	v_mul_f64 v[42:43], v[2:3], v[34:35]
                                        ; implicit-def: $vgpr28_vgpr29
.LBB12_152:                             ;   in Loop: Header=BB12_133 Depth=2
	s_andn2_saveexec_b64 s[82:83], s[82:83]
	s_cbranch_execz .LBB12_154
; %bb.153:                              ;   in Loop: Header=BB12_133 Depth=2
	v_div_scale_f64 v[2:3], s[56:57], v[36:37], v[36:37], -v[28:29]
	v_rcp_f64_e32 v[34:35], v[2:3]
	v_div_scale_f64 v[42:43], vcc, -v[28:29], v[36:37], -v[28:29]
	v_fma_f64 v[44:45], -v[2:3], v[34:35], 1.0
	v_fmac_f64_e32 v[34:35], v[34:35], v[44:45]
	v_fma_f64 v[44:45], -v[2:3], v[34:35], 1.0
	v_fmac_f64_e32 v[34:35], v[34:35], v[44:45]
	v_mul_f64 v[44:45], v[42:43], v[34:35]
	v_fma_f64 v[2:3], -v[2:3], v[44:45], v[42:43]
	v_div_fmas_f64 v[2:3], v[2:3], v[34:35], v[44:45]
	v_div_fixup_f64 v[2:3], v[2:3], v[36:37], -v[28:29]
	v_fma_f64 v[28:29], v[2:3], v[2:3], 1.0
	v_cmp_gt_f64_e32 vcc, s[72:73], v[28:29]
	s_nop 1
	v_cndmask_b32_e32 v27, 0, v58, vcc
	v_ldexp_f64 v[28:29], v[28:29], v27
	v_rsq_f64_e32 v[34:35], v[28:29]
	v_cndmask_b32_e32 v27, 0, v59, vcc
	v_cmp_class_f64_e32 vcc, v[28:29], v5
	v_mul_f64 v[42:43], v[28:29], v[34:35]
	v_mul_f64 v[34:35], v[34:35], 0.5
	v_fma_f64 v[44:45], -v[34:35], v[42:43], 0.5
	v_fmac_f64_e32 v[42:43], v[42:43], v[44:45]
	v_fma_f64 v[46:47], -v[42:43], v[42:43], v[28:29]
	v_fmac_f64_e32 v[34:35], v[34:35], v[44:45]
	v_fmac_f64_e32 v[42:43], v[46:47], v[34:35]
	v_fma_f64 v[44:45], -v[42:43], v[42:43], v[28:29]
	v_fmac_f64_e32 v[42:43], v[44:45], v[34:35]
	v_ldexp_f64 v[34:35], v[42:43], v27
	v_cndmask_b32_e32 v29, v35, v29, vcc
	v_cndmask_b32_e32 v28, v34, v28, vcc
	v_div_scale_f64 v[34:35], s[56:57], v[28:29], v[28:29], 1.0
	v_rcp_f64_e32 v[42:43], v[34:35]
	s_nop 0
	v_fma_f64 v[44:45], -v[34:35], v[42:43], 1.0
	v_fmac_f64_e32 v[42:43], v[42:43], v[44:45]
	v_fma_f64 v[44:45], -v[34:35], v[42:43], 1.0
	v_fmac_f64_e32 v[42:43], v[42:43], v[44:45]
	v_div_scale_f64 v[44:45], vcc, 1.0, v[28:29], 1.0
	v_mul_f64 v[46:47], v[44:45], v[42:43]
	v_fma_f64 v[34:35], -v[34:35], v[46:47], v[44:45]
	s_nop 1
	v_div_fmas_f64 v[34:35], v[34:35], v[42:43], v[46:47]
	v_div_fixup_f64 v[42:43], v[34:35], v[28:29], 1.0
	v_mul_f64 v[34:35], v[2:3], v[42:43]
.LBB12_154:                             ;   in Loop: Header=BB12_133 Depth=2
	s_or_b64 exec, exec, s[82:83]
.LBB12_155:                             ;   in Loop: Header=BB12_133 Depth=2
	s_or_b64 exec, exec, s[80:81]
.LBB12_156:                             ;   in Loop: Header=BB12_133 Depth=2
	s_or_b64 exec, exec, s[78:79]
	global_load_dwordx2 v[2:3], v[38:39], off offset:8
	v_add_f64 v[28:29], v[34:35], v[34:35]
	v_add_u32_e32 v46, 1, v30
	v_xor_b32_e32 v45, 0x80000000, v43
	v_mov_b32_e32 v44, v42
	v_lshl_add_u64 v[48:49], v[30:31], 3, s[48:49]
	v_cmp_lt_i32_e32 vcc, v46, v26
	v_lshl_add_u64 v[50:51], s[10:11], 3, v[48:49]
	s_waitcnt vmcnt(0)
	v_add_f64 v[2:3], v[2:3], -v[40:41]
	v_mul_f64 v[2:3], v[42:43], v[2:3]
	v_fma_f64 v[28:29], v[36:37], v[28:29], -v[2:3]
	v_mul_f64 v[2:3], v[28:29], -v[42:43]
	v_fma_f64 v[40:41], v[28:29], -v[42:43], v[40:41]
	v_fma_f64 v[28:29], v[34:35], v[28:29], -v[36:37]
	ds_write_b64 v6, v[2:3]
	global_store_dwordx2 v[38:39], v[40:41], off
	global_store_dwordx2 v[48:49], v[34:35], off
	global_store_dwordx2 v[50:51], v[44:45], off offset:-8
	s_and_saveexec_b64 s[78:79], vcc
	s_cbranch_execz .LBB12_173
; %bb.157:                              ;   in Loop: Header=BB12_133 Depth=2
	v_ashrrev_i32_e32 v47, 31, v46
	v_lshlrev_b64 v[40:41], 3, v[46:47]
	v_lshl_add_u64 v[36:37], s[48:49], 0, v[40:41]
	v_lshl_add_u64 v[38:39], s[60:61], 0, v[40:41]
	;; [unrolled: 1-line block ×3, first 2 shown]
	s_mov_b32 s35, 1
	s_mov_b64 s[80:81], 0
	s_branch .LBB12_159
.LBB12_158:                             ;   in Loop: Header=BB12_159 Depth=3
	global_load_dwordx4 v[50:53], v[40:41], off
	v_mul_f64 v[28:29], v[34:35], v[42:43]
	v_add_f64 v[42:43], v[46:47], v[46:47]
	s_add_i32 s35, s35, 1
	v_add_u32_e32 v27, s35, v30
	v_xor_b32_e32 v45, 0x80000000, v49
	v_mov_b32_e32 v44, v48
	v_lshl_add_u64 v[34:35], v[40:41], 0, 8
	v_cmp_ge_i32_e32 vcc, v27, v26
	v_lshl_add_u64 v[38:39], v[38:39], 0, 8
	v_lshl_add_u64 v[54:55], v[36:37], 0, s[62:63]
	s_or_b64 s[80:81], vcc, s[80:81]
	s_waitcnt vmcnt(0)
	v_add_f64 v[50:51], v[50:51], -v[2:3]
	v_add_f64 v[2:3], v[52:53], -v[50:51]
	v_mul_f64 v[2:3], v[48:49], v[2:3]
	v_fma_f64 v[42:43], v[28:29], v[42:43], -v[2:3]
	v_mul_f64 v[2:3], v[42:43], -v[48:49]
	v_fma_f64 v[48:49], v[42:43], -v[48:49], v[50:51]
	v_fma_f64 v[28:29], v[46:47], v[42:43], -v[28:29]
	global_store_dwordx2 v[40:41], v[48:49], off
	global_store_dwordx2 v[36:37], v[46:47], off
	;; [unrolled: 1-line block ×3, first 2 shown]
	v_lshl_add_u64 v[36:37], v[36:37], 0, 8
	v_mov_b64_e32 v[40:41], v[34:35]
	v_mov_b64_e32 v[34:35], v[46:47]
	s_andn2_b64 exec, exec, s[80:81]
	s_cbranch_execz .LBB12_172
.LBB12_159:                             ;   Parent Loop BB12_7 Depth=1
                                        ;     Parent Loop BB12_133 Depth=2
                                        ; =>    This Inner Loop Header: Depth=3
	global_load_dwordx2 v[42:43], v[38:39], off offset:8
	v_mov_b64_e32 v[48:49], 0
	v_mov_b64_e32 v[46:47], 1.0
	s_waitcnt vmcnt(0)
	v_mul_f64 v[44:45], v[44:45], v[42:43]
	v_cmp_neq_f64_e32 vcc, 0, v[44:45]
	s_and_saveexec_b64 s[82:83], vcc
	s_cbranch_execz .LBB12_169
; %bb.160:                              ;   in Loop: Header=BB12_159 Depth=3
	v_cmp_neq_f64_e32 vcc, 0, v[28:29]
	v_xor_b32_e32 v51, 0x80000000, v45
	v_mov_b32_e32 v50, v44
                                        ; implicit-def: $vgpr48_vgpr49
                                        ; implicit-def: $vgpr46_vgpr47
	s_and_saveexec_b64 s[56:57], vcc
	s_xor_b64 s[84:85], exec, s[56:57]
	s_cbranch_execz .LBB12_166
; %bb.161:                              ;   in Loop: Header=BB12_159 Depth=3
	v_cmp_ngt_f64_e64 s[56:57], |v[44:45]|, |v[28:29]|
                                        ; implicit-def: $vgpr48_vgpr49
                                        ; implicit-def: $vgpr46_vgpr47
	s_and_saveexec_b64 s[86:87], s[56:57]
	s_xor_b64 s[86:87], exec, s[86:87]
	s_cbranch_execz .LBB12_163
; %bb.162:                              ;   in Loop: Header=BB12_159 Depth=3
	v_div_scale_f64 v[46:47], s[56:57], v[28:29], v[28:29], -v[44:45]
	v_rcp_f64_e32 v[48:49], v[46:47]
	v_div_scale_f64 v[50:51], vcc, -v[44:45], v[28:29], -v[44:45]
	v_fma_f64 v[52:53], -v[46:47], v[48:49], 1.0
	v_fmac_f64_e32 v[48:49], v[48:49], v[52:53]
	v_fma_f64 v[52:53], -v[46:47], v[48:49], 1.0
	v_fmac_f64_e32 v[48:49], v[48:49], v[52:53]
	v_mul_f64 v[52:53], v[50:51], v[48:49]
	v_fma_f64 v[46:47], -v[46:47], v[52:53], v[50:51]
	v_div_fmas_f64 v[46:47], v[46:47], v[48:49], v[52:53]
	v_div_fixup_f64 v[48:49], v[46:47], v[28:29], -v[44:45]
	v_fma_f64 v[46:47], v[48:49], v[48:49], 1.0
	v_cmp_gt_f64_e32 vcc, s[72:73], v[46:47]
	s_nop 1
	v_cndmask_b32_e32 v27, 0, v58, vcc
	v_ldexp_f64 v[46:47], v[46:47], v27
	v_rsq_f64_e32 v[50:51], v[46:47]
	v_cndmask_b32_e32 v27, 0, v59, vcc
	v_cmp_class_f64_e32 vcc, v[46:47], v5
	v_mul_f64 v[52:53], v[46:47], v[50:51]
	v_mul_f64 v[50:51], v[50:51], 0.5
	v_fma_f64 v[54:55], -v[50:51], v[52:53], 0.5
	v_fmac_f64_e32 v[52:53], v[52:53], v[54:55]
	v_fma_f64 v[56:57], -v[52:53], v[52:53], v[46:47]
	v_fmac_f64_e32 v[50:51], v[50:51], v[54:55]
	v_fmac_f64_e32 v[52:53], v[56:57], v[50:51]
	v_fma_f64 v[54:55], -v[52:53], v[52:53], v[46:47]
	v_fmac_f64_e32 v[52:53], v[54:55], v[50:51]
	v_ldexp_f64 v[50:51], v[52:53], v27
	v_cndmask_b32_e32 v47, v51, v47, vcc
	v_cndmask_b32_e32 v46, v50, v46, vcc
	v_div_scale_f64 v[50:51], s[56:57], v[46:47], v[46:47], 1.0
	v_rcp_f64_e32 v[52:53], v[50:51]
	s_nop 0
	v_fma_f64 v[54:55], -v[50:51], v[52:53], 1.0
	v_fmac_f64_e32 v[52:53], v[52:53], v[54:55]
	v_fma_f64 v[54:55], -v[50:51], v[52:53], 1.0
	v_fmac_f64_e32 v[52:53], v[52:53], v[54:55]
	v_div_scale_f64 v[54:55], vcc, 1.0, v[46:47], 1.0
	v_mul_f64 v[56:57], v[54:55], v[52:53]
	v_fma_f64 v[50:51], -v[50:51], v[56:57], v[54:55]
	s_nop 1
	v_div_fmas_f64 v[50:51], v[50:51], v[52:53], v[56:57]
	v_div_fixup_f64 v[46:47], v[50:51], v[46:47], 1.0
	v_mul_f64 v[48:49], v[48:49], v[46:47]
.LBB12_163:                             ;   in Loop: Header=BB12_159 Depth=3
	s_andn2_saveexec_b64 s[86:87], s[86:87]
	s_cbranch_execz .LBB12_165
; %bb.164:                              ;   in Loop: Header=BB12_159 Depth=3
	v_div_scale_f64 v[46:47], s[56:57], v[44:45], v[44:45], -v[28:29]
	v_rcp_f64_e32 v[48:49], v[46:47]
	v_div_scale_f64 v[50:51], vcc, -v[28:29], v[44:45], -v[28:29]
	v_fma_f64 v[52:53], -v[46:47], v[48:49], 1.0
	v_fmac_f64_e32 v[48:49], v[48:49], v[52:53]
	v_fma_f64 v[52:53], -v[46:47], v[48:49], 1.0
	v_fmac_f64_e32 v[48:49], v[48:49], v[52:53]
	v_mul_f64 v[52:53], v[50:51], v[48:49]
	v_fma_f64 v[46:47], -v[46:47], v[52:53], v[50:51]
	v_div_fmas_f64 v[46:47], v[46:47], v[48:49], v[52:53]
	v_div_fixup_f64 v[46:47], v[46:47], v[44:45], -v[28:29]
	v_fma_f64 v[48:49], v[46:47], v[46:47], 1.0
	v_cmp_gt_f64_e32 vcc, s[72:73], v[48:49]
	s_nop 1
	v_cndmask_b32_e32 v27, 0, v58, vcc
	v_ldexp_f64 v[48:49], v[48:49], v27
	v_rsq_f64_e32 v[50:51], v[48:49]
	v_cndmask_b32_e32 v27, 0, v59, vcc
	v_cmp_class_f64_e32 vcc, v[48:49], v5
	v_mul_f64 v[52:53], v[48:49], v[50:51]
	v_mul_f64 v[50:51], v[50:51], 0.5
	v_fma_f64 v[54:55], -v[50:51], v[52:53], 0.5
	v_fmac_f64_e32 v[52:53], v[52:53], v[54:55]
	v_fma_f64 v[56:57], -v[52:53], v[52:53], v[48:49]
	v_fmac_f64_e32 v[50:51], v[50:51], v[54:55]
	v_fmac_f64_e32 v[52:53], v[56:57], v[50:51]
	v_fma_f64 v[54:55], -v[52:53], v[52:53], v[48:49]
	v_fmac_f64_e32 v[52:53], v[54:55], v[50:51]
	v_ldexp_f64 v[50:51], v[52:53], v27
	v_cndmask_b32_e32 v49, v51, v49, vcc
	v_cndmask_b32_e32 v48, v50, v48, vcc
	v_div_scale_f64 v[50:51], s[56:57], v[48:49], v[48:49], 1.0
	v_rcp_f64_e32 v[52:53], v[50:51]
	s_nop 0
	v_fma_f64 v[54:55], -v[50:51], v[52:53], 1.0
	v_fmac_f64_e32 v[52:53], v[52:53], v[54:55]
	v_fma_f64 v[54:55], -v[50:51], v[52:53], 1.0
	v_fmac_f64_e32 v[52:53], v[52:53], v[54:55]
	v_div_scale_f64 v[54:55], vcc, 1.0, v[48:49], 1.0
	v_mul_f64 v[56:57], v[54:55], v[52:53]
	v_fma_f64 v[50:51], -v[50:51], v[56:57], v[54:55]
	s_nop 1
	v_div_fmas_f64 v[50:51], v[50:51], v[52:53], v[56:57]
	v_div_fixup_f64 v[48:49], v[50:51], v[48:49], 1.0
	v_mul_f64 v[46:47], v[46:47], v[48:49]
.LBB12_165:                             ;   in Loop: Header=BB12_159 Depth=3
	s_or_b64 exec, exec, s[86:87]
	v_mul_f64 v[44:45], v[44:45], v[48:49]
	v_fma_f64 v[50:51], v[28:29], v[46:47], -v[44:45]
.LBB12_166:                             ;   in Loop: Header=BB12_159 Depth=3
	s_andn2_saveexec_b64 s[84:85], s[84:85]
; %bb.167:                              ;   in Loop: Header=BB12_159 Depth=3
	v_mov_b64_e32 v[46:47], 0
	v_mov_b64_e32 v[48:49], 1.0
; %bb.168:                              ;   in Loop: Header=BB12_159 Depth=3
	s_or_b64 exec, exec, s[84:85]
	v_mov_b64_e32 v[28:29], v[50:51]
.LBB12_169:                             ;   in Loop: Header=BB12_159 Depth=3
	s_or_b64 exec, exec, s[82:83]
	s_cmp_eq_u32 s35, 0
	s_cbranch_scc1 .LBB12_158
; %bb.170:                              ;   in Loop: Header=BB12_159 Depth=3
	global_store_dwordx2 v[38:39], v[28:29], off
	s_branch .LBB12_158
.LBB12_171:                             ;   in Loop: Header=BB12_133 Depth=2
	ds_write2_b32 v6, v30, v26 offset0:5 offset1:7
	s_cbranch_execz .LBB12_144
	s_branch .LBB12_145
.LBB12_172:                             ;   in Loop: Header=BB12_133 Depth=2
	s_or_b64 exec, exec, s[80:81]
	ds_write_b64 v6, v[2:3]
.LBB12_173:                             ;   in Loop: Header=BB12_133 Depth=2
	s_or_b64 exec, exec, s[78:79]
	global_load_dwordx2 v[36:37], v[32:33], off
.LBB12_174:                             ;   in Loop: Header=BB12_133 Depth=2
	s_or_b64 exec, exec, s[76:77]
	s_waitcnt vmcnt(0)
	v_add_f64 v[2:3], v[36:37], -v[2:3]
	global_store_dwordx2 v[32:33], v[2:3], off
	global_store_dwordx2 v[0:1], v[28:29], off offset:-8
                                        ; implicit-def: $vgpr32_vgpr33
                                        ; implicit-def: $vgpr34_vgpr35
                                        ; implicit-def: $vgpr26
                                        ; implicit-def: $vgpr36_vgpr37
                                        ; implicit-def: $vgpr30
.LBB12_175:                             ;   in Loop: Header=BB12_133 Depth=2
	s_andn2_saveexec_b64 s[76:77], s[4:5]
	s_cbranch_execz .LBB12_208
; %bb.176:                              ;   in Loop: Header=BB12_133 Depth=2
	v_ashrrev_i32_e32 v31, 31, v30
	v_lshlrev_b64 v[0:1], 3, v[30:31]
	v_lshl_add_u64 v[2:3], s[22:23], 0, v[0:1]
	v_lshl_add_u64 v[28:29], s[46:47], 0, v[0:1]
	global_load_dwordx2 v[0:1], v[2:3], off
	global_load_dwordx2 v[40:41], v[28:29], off
                                        ; implicit-def: $vgpr42_vgpr43
	s_waitcnt vmcnt(1)
	v_add_f64 v[38:39], v[0:1], -v[36:37]
	s_waitcnt vmcnt(0)
	v_add_f64 v[28:29], v[40:41], v[40:41]
	v_cmp_ngt_f64_e64 s[4:5], |v[38:39]|, |v[28:29]|
	s_and_saveexec_b64 s[56:57], s[4:5]
	s_xor_b64 s[4:5], exec, s[56:57]
	s_cbranch_execz .LBB12_182
; %bb.177:                              ;   in Loop: Header=BB12_133 Depth=2
	v_cmp_nlt_f64_e64 s[56:57], |v[38:39]|, |v[28:29]|
                                        ; implicit-def: $vgpr42_vgpr43
	s_and_saveexec_b64 s[78:79], s[56:57]
	s_xor_b64 s[78:79], exec, s[78:79]
; %bb.178:                              ;   in Loop: Header=BB12_133 Depth=2
	v_mul_f64 v[42:43], |v[28:29]|, s[92:93]
; %bb.179:                              ;   in Loop: Header=BB12_133 Depth=2
	s_andn2_saveexec_b64 s[78:79], s[78:79]
	s_cbranch_execz .LBB12_181
; %bb.180:                              ;   in Loop: Header=BB12_133 Depth=2
	v_and_b32_e32 v3, 0x7fffffff, v39
	v_mov_b32_e32 v2, v38
	v_and_b32_e32 v43, 0x7fffffff, v29
	v_mov_b32_e32 v42, v28
	v_div_scale_f64 v[44:45], s[56:57], v[42:43], v[42:43], v[2:3]
	v_rcp_f64_e32 v[46:47], v[44:45]
	v_div_scale_f64 v[2:3], vcc, v[2:3], v[42:43], v[2:3]
	v_fma_f64 v[48:49], -v[44:45], v[46:47], 1.0
	v_fmac_f64_e32 v[46:47], v[46:47], v[48:49]
	v_fma_f64 v[48:49], -v[44:45], v[46:47], 1.0
	v_fmac_f64_e32 v[46:47], v[46:47], v[48:49]
	v_mul_f64 v[42:43], v[2:3], v[46:47]
	v_fma_f64 v[2:3], -v[44:45], v[42:43], v[2:3]
	v_div_fmas_f64 v[2:3], v[2:3], v[46:47], v[42:43]
	v_div_fixup_f64 v[2:3], v[2:3], |v[28:29]|, |v[38:39]|
	v_fma_f64 v[2:3], v[2:3], v[2:3], 1.0
	v_cmp_gt_f64_e32 vcc, s[72:73], v[2:3]
	s_nop 1
	v_cndmask_b32_e32 v27, 0, v58, vcc
	v_ldexp_f64 v[2:3], v[2:3], v27
	v_rsq_f64_e32 v[42:43], v[2:3]
	v_cndmask_b32_e32 v27, 0, v59, vcc
	v_cmp_class_f64_e32 vcc, v[2:3], v5
	v_mul_f64 v[44:45], v[2:3], v[42:43]
	v_mul_f64 v[42:43], v[42:43], 0.5
	v_fma_f64 v[46:47], -v[42:43], v[44:45], 0.5
	v_fmac_f64_e32 v[44:45], v[44:45], v[46:47]
	v_fma_f64 v[48:49], -v[44:45], v[44:45], v[2:3]
	v_fmac_f64_e32 v[42:43], v[42:43], v[46:47]
	v_fmac_f64_e32 v[44:45], v[48:49], v[42:43]
	v_fma_f64 v[46:47], -v[44:45], v[44:45], v[2:3]
	v_fmac_f64_e32 v[44:45], v[46:47], v[42:43]
	v_ldexp_f64 v[42:43], v[44:45], v27
	v_cndmask_b32_e32 v3, v43, v3, vcc
	v_cndmask_b32_e32 v2, v42, v2, vcc
	v_mul_f64 v[42:43], |v[28:29]|, v[2:3]
.LBB12_181:                             ;   in Loop: Header=BB12_133 Depth=2
	s_or_b64 exec, exec, s[78:79]
.LBB12_182:                             ;   in Loop: Header=BB12_133 Depth=2
	s_andn2_saveexec_b64 s[4:5], s[4:5]
	s_cbranch_execz .LBB12_184
; %bb.183:                              ;   in Loop: Header=BB12_133 Depth=2
	v_and_b32_e32 v3, 0x7fffffff, v29
	v_mov_b32_e32 v2, v28
	v_and_b32_e32 v43, 0x7fffffff, v39
	v_mov_b32_e32 v42, v38
	v_div_scale_f64 v[44:45], s[56:57], v[42:43], v[42:43], v[2:3]
	v_rcp_f64_e32 v[46:47], v[44:45]
	v_div_scale_f64 v[2:3], vcc, v[2:3], v[42:43], v[2:3]
	v_fma_f64 v[48:49], -v[44:45], v[46:47], 1.0
	v_fmac_f64_e32 v[46:47], v[46:47], v[48:49]
	v_fma_f64 v[48:49], -v[44:45], v[46:47], 1.0
	v_fmac_f64_e32 v[46:47], v[46:47], v[48:49]
	v_mul_f64 v[42:43], v[2:3], v[46:47]
	v_fma_f64 v[2:3], -v[44:45], v[42:43], v[2:3]
	v_div_fmas_f64 v[2:3], v[2:3], v[46:47], v[42:43]
	v_div_fixup_f64 v[2:3], v[2:3], |v[38:39]|, |v[28:29]|
	v_fma_f64 v[2:3], v[2:3], v[2:3], 1.0
	v_cmp_gt_f64_e32 vcc, s[72:73], v[2:3]
	s_nop 1
	v_cndmask_b32_e32 v27, 0, v58, vcc
	v_ldexp_f64 v[2:3], v[2:3], v27
	v_rsq_f64_e32 v[42:43], v[2:3]
	v_cndmask_b32_e32 v27, 0, v59, vcc
	v_cmp_class_f64_e32 vcc, v[2:3], v5
	v_mul_f64 v[44:45], v[2:3], v[42:43]
	v_mul_f64 v[42:43], v[42:43], 0.5
	v_fma_f64 v[46:47], -v[42:43], v[44:45], 0.5
	v_fmac_f64_e32 v[44:45], v[44:45], v[46:47]
	v_fma_f64 v[48:49], -v[44:45], v[44:45], v[2:3]
	v_fmac_f64_e32 v[42:43], v[42:43], v[46:47]
	v_fmac_f64_e32 v[44:45], v[48:49], v[42:43]
	v_fma_f64 v[46:47], -v[44:45], v[44:45], v[2:3]
	v_fmac_f64_e32 v[44:45], v[46:47], v[42:43]
	v_ldexp_f64 v[42:43], v[44:45], v27
	v_cndmask_b32_e32 v3, v43, v3, vcc
	v_cndmask_b32_e32 v2, v42, v2, vcc
	v_mul_f64 v[42:43], |v[38:39]|, v[2:3]
.LBB12_184:                             ;   in Loop: Header=BB12_133 Depth=2
	s_or_b64 exec, exec, s[4:5]
	v_add_f64 v[46:47], v[36:37], v[0:1]
	v_cmp_gt_f64_e64 vcc, |v[0:1]|, |v[36:37]|
	s_nop 1
	v_cndmask_b32_e32 v45, v1, v37, vcc
	v_cndmask_b32_e32 v44, v0, v36, vcc
	;; [unrolled: 1-line block ×4, first 2 shown]
	v_cmp_ngt_f64_e32 vcc, 0, v[46:47]
                                        ; implicit-def: $vgpr2_vgpr3
	s_and_saveexec_b64 s[4:5], vcc
	s_xor_b64 s[4:5], exec, s[4:5]
	s_cbranch_execz .LBB12_190
; %bb.185:                              ;   in Loop: Header=BB12_133 Depth=2
	v_cmp_nlt_f64_e32 vcc, 0, v[46:47]
                                        ; implicit-def: $vgpr2_vgpr3
	s_and_saveexec_b64 s[56:57], vcc
	s_xor_b64 s[78:79], exec, s[56:57]
; %bb.186:                              ;   in Loop: Header=BB12_133 Depth=2
	v_mul_f64 v[0:1], v[42:43], 0.5
	v_mul_f64 v[2:3], v[42:43], -0.5
                                        ; implicit-def: $vgpr46_vgpr47
                                        ; implicit-def: $vgpr36_vgpr37
                                        ; implicit-def: $vgpr40_vgpr41
                                        ; implicit-def: $vgpr44_vgpr45
; %bb.187:                              ;   in Loop: Header=BB12_133 Depth=2
	s_andn2_saveexec_b64 s[78:79], s[78:79]
	s_cbranch_execz .LBB12_189
; %bb.188:                              ;   in Loop: Header=BB12_133 Depth=2
	v_add_f64 v[0:1], v[46:47], v[42:43]
	v_mul_f64 v[0:1], v[0:1], 0.5
	v_div_scale_f64 v[2:3], s[56:57], v[0:1], v[0:1], v[36:37]
	v_rcp_f64_e32 v[46:47], v[2:3]
	v_div_scale_f64 v[48:49], vcc, v[36:37], v[0:1], v[36:37]
	v_fma_f64 v[50:51], -v[2:3], v[46:47], 1.0
	v_fmac_f64_e32 v[46:47], v[46:47], v[50:51]
	v_fma_f64 v[50:51], -v[2:3], v[46:47], 1.0
	v_fmac_f64_e32 v[46:47], v[46:47], v[50:51]
	v_mul_f64 v[50:51], v[48:49], v[46:47]
	v_fma_f64 v[2:3], -v[2:3], v[50:51], v[48:49]
	v_div_scale_f64 v[48:49], s[56:57], v[0:1], v[0:1], v[40:41]
	v_rcp_f64_e32 v[52:53], v[48:49]
	v_div_fmas_f64 v[2:3], v[2:3], v[46:47], v[50:51]
	v_div_fixup_f64 v[2:3], v[2:3], v[0:1], v[36:37]
	v_fma_f64 v[36:37], -v[48:49], v[52:53], 1.0
	v_fmac_f64_e32 v[52:53], v[52:53], v[36:37]
	v_fma_f64 v[36:37], -v[48:49], v[52:53], 1.0
	v_fmac_f64_e32 v[52:53], v[52:53], v[36:37]
	v_div_scale_f64 v[36:37], vcc, v[40:41], v[0:1], v[40:41]
	v_mul_f64 v[46:47], v[36:37], v[52:53]
	v_fma_f64 v[36:37], -v[48:49], v[46:47], v[36:37]
	s_nop 1
	v_div_fmas_f64 v[36:37], v[36:37], v[52:53], v[46:47]
	v_div_fixup_f64 v[36:37], v[36:37], v[0:1], v[40:41]
	v_mul_f64 v[36:37], v[40:41], v[36:37]
	v_fma_f64 v[2:3], v[44:45], v[2:3], -v[36:37]
.LBB12_189:                             ;   in Loop: Header=BB12_133 Depth=2
	s_or_b64 exec, exec, s[78:79]
                                        ; implicit-def: $vgpr46_vgpr47
                                        ; implicit-def: $vgpr36_vgpr37
                                        ; implicit-def: $vgpr40_vgpr41
                                        ; implicit-def: $vgpr44_vgpr45
.LBB12_190:                             ;   in Loop: Header=BB12_133 Depth=2
	s_or_saveexec_b64 s[4:5], s[4:5]
	v_mov_b32_e32 v27, 1
	s_xor_b64 exec, exec, s[4:5]
	s_cbranch_execz .LBB12_192
; %bb.191:                              ;   in Loop: Header=BB12_133 Depth=2
	v_add_f64 v[0:1], v[46:47], -v[42:43]
	v_mul_f64 v[0:1], v[0:1], 0.5
	v_div_scale_f64 v[2:3], s[56:57], v[0:1], v[0:1], v[36:37]
	v_rcp_f64_e32 v[46:47], v[2:3]
	v_div_scale_f64 v[48:49], vcc, v[36:37], v[0:1], v[36:37]
	v_mov_b32_e32 v27, -1
	v_fma_f64 v[50:51], -v[2:3], v[46:47], 1.0
	v_fmac_f64_e32 v[46:47], v[46:47], v[50:51]
	v_fma_f64 v[50:51], -v[2:3], v[46:47], 1.0
	v_fmac_f64_e32 v[46:47], v[46:47], v[50:51]
	v_mul_f64 v[50:51], v[48:49], v[46:47]
	v_fma_f64 v[2:3], -v[2:3], v[50:51], v[48:49]
	v_div_scale_f64 v[48:49], s[56:57], v[0:1], v[0:1], v[40:41]
	v_rcp_f64_e32 v[52:53], v[48:49]
	v_div_fmas_f64 v[2:3], v[2:3], v[46:47], v[50:51]
	v_div_fixup_f64 v[2:3], v[2:3], v[0:1], v[36:37]
	v_fma_f64 v[36:37], -v[48:49], v[52:53], 1.0
	v_fmac_f64_e32 v[52:53], v[52:53], v[36:37]
	v_fma_f64 v[36:37], -v[48:49], v[52:53], 1.0
	v_fmac_f64_e32 v[52:53], v[52:53], v[36:37]
	v_div_scale_f64 v[36:37], vcc, v[40:41], v[0:1], v[40:41]
	v_mul_f64 v[46:47], v[36:37], v[52:53]
	v_fma_f64 v[36:37], -v[48:49], v[46:47], v[36:37]
	s_nop 1
	v_div_fmas_f64 v[36:37], v[36:37], v[52:53], v[46:47]
	v_div_fixup_f64 v[36:37], v[36:37], v[0:1], v[40:41]
	v_mul_f64 v[36:37], v[40:41], v[36:37]
	v_fma_f64 v[2:3], v[44:45], v[2:3], -v[36:37]
.LBB12_192:                             ;   in Loop: Header=BB12_133 Depth=2
	s_or_b64 exec, exec, s[4:5]
	v_xor_b32_e32 v36, 0x80000000, v43
	v_cmp_nle_f64_e64 s[4:5], 0, v[38:39]
                                        ; implicit-def: $vgpr40_vgpr41
	s_nop 1
	v_cndmask_b32_e64 v43, v43, v36, s[4:5]
	v_add_f64 v[36:37], v[38:39], v[42:43]
	v_cmp_ngt_f64_e64 s[56:57], |v[36:37]|, |v[28:29]|
                                        ; implicit-def: $vgpr38_vgpr39
	s_and_saveexec_b64 s[78:79], s[56:57]
	s_xor_b64 s[78:79], exec, s[78:79]
	s_cbranch_execz .LBB12_196
; %bb.193:                              ;   in Loop: Header=BB12_133 Depth=2
	v_mov_b64_e32 v[38:39], 0
	v_cmp_neq_f64_e32 vcc, 0, v[28:29]
	v_mov_b64_e32 v[40:41], 1.0
	s_and_saveexec_b64 s[80:81], vcc
	s_cbranch_execz .LBB12_195
; %bb.194:                              ;   in Loop: Header=BB12_133 Depth=2
	v_div_scale_f64 v[38:39], s[56:57], v[28:29], v[28:29], -v[36:37]
	v_rcp_f64_e32 v[40:41], v[38:39]
	v_div_scale_f64 v[42:43], vcc, -v[36:37], v[28:29], -v[36:37]
	v_fma_f64 v[44:45], -v[38:39], v[40:41], 1.0
	v_fmac_f64_e32 v[40:41], v[40:41], v[44:45]
	v_fma_f64 v[44:45], -v[38:39], v[40:41], 1.0
	v_fmac_f64_e32 v[40:41], v[40:41], v[44:45]
	v_mul_f64 v[44:45], v[42:43], v[40:41]
	v_fma_f64 v[38:39], -v[38:39], v[44:45], v[42:43]
	v_div_fmas_f64 v[38:39], v[38:39], v[40:41], v[44:45]
	v_div_fixup_f64 v[28:29], v[38:39], v[28:29], -v[36:37]
	v_fma_f64 v[36:37], v[28:29], v[28:29], 1.0
	v_cmp_gt_f64_e32 vcc, s[72:73], v[36:37]
	s_nop 1
	v_cndmask_b32_e32 v38, 0, v58, vcc
	v_ldexp_f64 v[36:37], v[36:37], v38
	v_rsq_f64_e32 v[38:39], v[36:37]
	s_nop 0
	v_mul_f64 v[40:41], v[36:37], v[38:39]
	v_mul_f64 v[38:39], v[38:39], 0.5
	v_fma_f64 v[42:43], -v[38:39], v[40:41], 0.5
	v_fmac_f64_e32 v[40:41], v[40:41], v[42:43]
	v_fma_f64 v[44:45], -v[40:41], v[40:41], v[36:37]
	v_fmac_f64_e32 v[38:39], v[38:39], v[42:43]
	v_fmac_f64_e32 v[40:41], v[44:45], v[38:39]
	v_fma_f64 v[42:43], -v[40:41], v[40:41], v[36:37]
	v_fmac_f64_e32 v[40:41], v[42:43], v[38:39]
	v_cndmask_b32_e32 v38, 0, v59, vcc
	v_ldexp_f64 v[38:39], v[40:41], v38
	v_cmp_class_f64_e32 vcc, v[36:37], v5
	s_nop 1
	v_cndmask_b32_e32 v37, v39, v37, vcc
	v_cndmask_b32_e32 v36, v38, v36, vcc
	v_div_scale_f64 v[38:39], s[56:57], v[36:37], v[36:37], 1.0
	v_rcp_f64_e32 v[40:41], v[38:39]
	s_nop 0
	v_fma_f64 v[42:43], -v[38:39], v[40:41], 1.0
	v_fmac_f64_e32 v[40:41], v[40:41], v[42:43]
	v_fma_f64 v[42:43], -v[38:39], v[40:41], 1.0
	v_fmac_f64_e32 v[40:41], v[40:41], v[42:43]
	v_div_scale_f64 v[42:43], vcc, 1.0, v[36:37], 1.0
	v_mul_f64 v[44:45], v[42:43], v[40:41]
	v_fma_f64 v[38:39], -v[38:39], v[44:45], v[42:43]
	s_nop 1
	v_div_fmas_f64 v[38:39], v[38:39], v[40:41], v[44:45]
	v_div_fixup_f64 v[40:41], v[38:39], v[36:37], 1.0
	v_mul_f64 v[38:39], v[28:29], v[40:41]
.LBB12_195:                             ;   in Loop: Header=BB12_133 Depth=2
	s_or_b64 exec, exec, s[80:81]
                                        ; implicit-def: $vgpr36_vgpr37
                                        ; implicit-def: $vgpr28_vgpr29
.LBB12_196:                             ;   in Loop: Header=BB12_133 Depth=2
	s_andn2_saveexec_b64 s[78:79], s[78:79]
	s_cbranch_execz .LBB12_198
; %bb.197:                              ;   in Loop: Header=BB12_133 Depth=2
	v_div_scale_f64 v[38:39], s[56:57], v[36:37], v[36:37], -v[28:29]
	v_rcp_f64_e32 v[40:41], v[38:39]
	v_div_scale_f64 v[42:43], vcc, -v[28:29], v[36:37], -v[28:29]
	v_fma_f64 v[44:45], -v[38:39], v[40:41], 1.0
	v_fmac_f64_e32 v[40:41], v[40:41], v[44:45]
	v_fma_f64 v[44:45], -v[38:39], v[40:41], 1.0
	v_fmac_f64_e32 v[40:41], v[40:41], v[44:45]
	v_mul_f64 v[44:45], v[42:43], v[40:41]
	v_fma_f64 v[38:39], -v[38:39], v[44:45], v[42:43]
	v_div_fmas_f64 v[38:39], v[38:39], v[40:41], v[44:45]
	v_div_fixup_f64 v[28:29], v[38:39], v[36:37], -v[28:29]
	v_fma_f64 v[36:37], v[28:29], v[28:29], 1.0
	v_cmp_gt_f64_e32 vcc, s[72:73], v[36:37]
	s_nop 1
	v_cndmask_b32_e32 v38, 0, v58, vcc
	v_ldexp_f64 v[36:37], v[36:37], v38
	v_rsq_f64_e32 v[38:39], v[36:37]
	s_nop 0
	v_mul_f64 v[40:41], v[36:37], v[38:39]
	v_mul_f64 v[38:39], v[38:39], 0.5
	v_fma_f64 v[42:43], -v[38:39], v[40:41], 0.5
	v_fmac_f64_e32 v[40:41], v[40:41], v[42:43]
	v_fma_f64 v[44:45], -v[40:41], v[40:41], v[36:37]
	v_fmac_f64_e32 v[38:39], v[38:39], v[42:43]
	v_fmac_f64_e32 v[40:41], v[44:45], v[38:39]
	v_fma_f64 v[42:43], -v[40:41], v[40:41], v[36:37]
	v_fmac_f64_e32 v[40:41], v[42:43], v[38:39]
	v_cndmask_b32_e32 v38, 0, v59, vcc
	v_ldexp_f64 v[38:39], v[40:41], v38
	v_cmp_class_f64_e32 vcc, v[36:37], v5
	s_nop 1
	v_cndmask_b32_e32 v37, v39, v37, vcc
	v_cndmask_b32_e32 v36, v38, v36, vcc
	v_div_scale_f64 v[38:39], s[56:57], v[36:37], v[36:37], 1.0
	v_rcp_f64_e32 v[40:41], v[38:39]
	s_nop 0
	v_fma_f64 v[42:43], -v[38:39], v[40:41], 1.0
	v_fmac_f64_e32 v[40:41], v[40:41], v[42:43]
	v_fma_f64 v[42:43], -v[38:39], v[40:41], 1.0
	v_fmac_f64_e32 v[40:41], v[40:41], v[42:43]
	v_div_scale_f64 v[42:43], vcc, 1.0, v[36:37], 1.0
	v_mul_f64 v[44:45], v[42:43], v[40:41]
	v_fma_f64 v[38:39], -v[38:39], v[44:45], v[42:43]
	s_nop 1
	v_div_fmas_f64 v[38:39], v[38:39], v[40:41], v[44:45]
	v_div_fixup_f64 v[38:39], v[38:39], v[36:37], 1.0
	v_mul_f64 v[40:41], v[28:29], v[38:39]
.LBB12_198:                             ;   in Loop: Header=BB12_133 Depth=2
	s_or_b64 exec, exec, s[78:79]
	v_cndmask_b32_e64 v28, 1, -1, s[4:5]
	v_xor_b32_e32 v29, 0x80000000, v39
	v_cmp_eq_u32_e32 vcc, v27, v28
	v_lshl_add_u64 v[30:31], v[30:31], 3, s[48:49]
	s_nop 0
	v_cndmask_b32_e32 v29, v41, v29, vcc
	v_cndmask_b32_e32 v28, v40, v38, vcc
	;; [unrolled: 1-line block ×4, first 2 shown]
	global_store_dwordx2 v[30:31], v[28:29], off
	v_lshl_add_u64 v[28:29], s[10:11], 3, v[30:31]
	global_store_dwordx2 v[28:29], v[36:37], off offset:-8
	global_store_dwordx4 v[32:33], v[0:3], off offset:-8
	s_nop 1
	v_lshl_add_u64 v[0:1], v[34:35], 3, s[46:47]
	global_store_dwordx2 v[0:1], v[6:7], off offset:-8
	v_add_u32_e32 v0, -2, v26
	ds_write_b32 v6, v0 offset:16
	s_or_b64 exec, exec, s[76:77]
                                        ; implicit-def: $vgpr0
.LBB12_199:                             ;   in Loop: Header=BB12_133 Depth=2
	s_andn2_saveexec_b64 s[4:5], s[6:7]
.LBB12_200:                             ;   in Loop: Header=BB12_133 Depth=2
	ds_write_b32 v6, v0 offset:16
.LBB12_201:                             ;   in Loop: Header=BB12_133 Depth=2
	s_or_b64 exec, exec, s[4:5]
.LBB12_202:                             ;   in Loop: Header=BB12_133 Depth=2
	s_or_b64 exec, exec, s[0:1]
	s_waitcnt lgkmcnt(0)
	s_barrier
	ds_read_b64 v[0:1], v6 offset:16
	s_waitcnt lgkmcnt(0)
	v_readfirstlane_b32 s4, v1
	s_nop 1
	v_cmp_eq_u32_e32 vcc, s4, v0
	v_mov_b32_e32 v26, s4
	s_cbranch_vccnz .LBB12_132
; %bb.203:                              ;   in Loop: Header=BB12_133 Depth=2
	s_and_saveexec_b64 s[0:1], s[2:3]
	s_cbranch_execz .LBB12_131
; %bb.204:                              ;   in Loop: Header=BB12_133 Depth=2
	ds_read_b32 v0, v6 offset:28
	s_ashr_i32 s5, s4, 31
	s_lshl_b64 s[56:57], s[4:5], 3
	s_mul_i32 s6, s4, s15
	s_mov_b64 s[80:81], 0
	s_waitcnt lgkmcnt(0)
	v_readfirstlane_b32 s5, v0
	s_sub_i32 s35, s5, s4
	s_add_u32 s4, s48, s56
	s_addc_u32 s5, s49, s57
	s_ashr_i32 s7, s6, 31
	s_lshl_b64 s[56:57], s[6:7], 3
	s_add_u32 s6, s14, s56
	s_addc_u32 s7, s98, s57
	s_cmp_gt_i32 s35, 0
	s_mul_hi_i32 s79, s35, s50
	s_mul_i32 s78, s35, s50
	s_cselect_b64 s[76:77], -1, 0
	s_lshl_b64 s[78:79], s[78:79], 3
	s_add_u32 s78, s6, s78
	s_addc_u32 s79, s7, s79
	v_lshl_add_u64 v[0:1], v[10:11], 0, s[56:57]
	v_mov_b32_e32 v2, v4
	s_branch .LBB12_206
.LBB12_205:                             ;   in Loop: Header=BB12_206 Depth=3
	v_lshl_add_u64 v[28:29], v[2:3], 3, s[78:79]
	v_add_u32_e32 v2, s34, v2
	v_cmp_le_i32_e32 vcc, s10, v2
	s_or_b64 s[80:81], vcc, s[80:81]
	v_lshl_add_u64 v[0:1], v[0:1], 0, s[54:55]
	s_waitcnt vmcnt(0)
	global_store_dwordx2 v[28:29], v[26:27], off
	s_andn2_b64 exec, exec, s[80:81]
	s_cbranch_execz .LBB12_131
.LBB12_206:                             ;   Parent Loop BB12_7 Depth=1
                                        ;     Parent Loop BB12_133 Depth=2
                                        ; =>    This Loop Header: Depth=3
                                        ;         Child Loop BB12_207 Depth 4
	v_ashrrev_i32_e32 v3, 31, v2
	v_lshl_add_u64 v[26:27], v[2:3], 3, s[6:7]
	global_load_dwordx2 v[26:27], v[26:27], off
	s_andn2_b64 vcc, exec, s[76:77]
	s_mov_b64 s[82:83], s[4:5]
	v_mov_b64_e32 v[28:29], v[0:1]
	s_mov_b32 s41, s35
	s_cbranch_vccnz .LBB12_205
.LBB12_207:                             ;   Parent Loop BB12_7 Depth=1
                                        ;     Parent Loop BB12_133 Depth=2
                                        ;       Parent Loop BB12_206 Depth=3
                                        ; =>      This Inner Loop Header: Depth=4
	s_add_u32 s56, s82, s62
	v_lshl_add_u64 v[30:31], v[28:29], 0, s[64:65]
	s_addc_u32 s57, s83, s63
	global_load_dwordx2 v[32:33], v[30:31], off
	global_load_dwordx2 v[34:35], v6, s[56:57]
	global_load_dwordx2 v[36:37], v6, s[82:83]
	s_add_i32 s41, s41, -1
	s_add_u32 s82, s82, 8
	s_addc_u32 s83, s83, 0
	s_cmp_eq_u32 s41, 0
	s_waitcnt vmcnt(1)
	v_mul_f64 v[38:39], v[34:35], v[32:33]
	v_mul_f64 v[34:35], v[26:27], v[34:35]
	s_waitcnt vmcnt(0)
	v_fmac_f64_e32 v[38:39], v[26:27], v[36:37]
	v_fma_f64 v[26:27], v[36:37], v[32:33], -v[34:35]
	global_store_dwordx2 v[28:29], v[38:39], off
	v_mov_b64_e32 v[28:29], v[30:31]
	s_cbranch_scc0 .LBB12_207
	s_branch .LBB12_205
.LBB12_208:                             ;   in Loop: Header=BB12_133 Depth=2
	s_or_b64 exec, exec, s[76:77]
                                        ; implicit-def: $vgpr0
	s_andn2_saveexec_b64 s[4:5], s[6:7]
	s_cbranch_execnz .LBB12_200
	s_branch .LBB12_201
.LBB12_209:                             ;   in Loop: Header=BB12_7 Depth=1
	v_mov_b32_e32 v60, v27
	v_mov_b64_e32 v[14:15], v[30:31]
	v_mov_b64_e32 v[16:17], v[32:33]
.LBB12_210:                             ;   in Loop: Header=BB12_7 Depth=1
	s_barrier
	ds_read_b64 v[0:1], v6 offset:8
	s_waitcnt lgkmcnt(0)
	v_cmp_nlt_f64_e32 vcc, s[44:45], v[0:1]
	s_cbranch_vccnz .LBB12_217
; %bb.211:                              ;   in Loop: Header=BB12_7 Depth=1
	v_div_scale_f64 v[26:27], s[0:1], v[0:1], v[0:1], s[44:45]
	v_rcp_f64_e32 v[28:29], v[26:27]
	ds_read2_b32 v[2:3], v6 offset0:7 offset1:10
	v_fma_f64 v[30:31], -v[26:27], v[28:29], 1.0
	v_fmac_f64_e32 v[28:29], v[28:29], v[30:31]
	v_fma_f64 v[30:31], -v[26:27], v[28:29], 1.0
	v_fmac_f64_e32 v[28:29], v[28:29], v[30:31]
	v_div_scale_f64 v[30:31], vcc, s[44:45], v[0:1], s[44:45]
	v_mul_f64 v[32:33], v[30:31], v[28:29]
	v_fma_f64 v[26:27], -v[26:27], v[32:33], v[30:31]
	s_nop 1
	v_div_fmas_f64 v[26:27], v[26:27], v[28:29], v[32:33]
	v_div_fixup_f64 v[26:27], v[26:27], v[0:1], s[44:45]
	s_and_saveexec_b64 s[0:1], s[8:9]
	s_cbranch_execz .LBB12_213
; %bb.212:                              ;   in Loop: Header=BB12_7 Depth=1
	s_waitcnt lgkmcnt(0)
	v_ashrrev_i32_e32 v29, 31, v3
	v_mov_b32_e32 v28, v3
	v_lshlrev_b64 v[28:29], 3, v[28:29]
	v_lshl_add_u64 v[28:29], s[22:23], 0, v[28:29]
	global_load_dwordx2 v[30:31], v[28:29], off
	s_waitcnt vmcnt(0)
	v_mul_f64 v[30:31], v[26:27], v[30:31]
	global_store_dwordx2 v[28:29], v[30:31], off
.LBB12_213:                             ;   in Loop: Header=BB12_7 Depth=1
	s_or_b64 exec, exec, s[0:1]
	s_waitcnt lgkmcnt(0)
	v_add_u32_e32 v28, v2, v4
	v_cmp_lt_i32_e32 vcc, v28, v3
	s_and_saveexec_b64 s[0:1], vcc
	s_cbranch_execz .LBB12_216
; %bb.214:                              ;   in Loop: Header=BB12_7 Depth=1
	v_ashrrev_i32_e32 v29, 31, v28
	v_lshlrev_b64 v[30:31], 3, v[28:29]
	s_mov_b64 s[4:5], 0
.LBB12_215:                             ;   Parent Loop BB12_7 Depth=1
                                        ; =>  This Inner Loop Header: Depth=2
	v_lshl_add_u64 v[32:33], s[22:23], 0, v[30:31]
	global_load_dwordx2 v[34:35], v[32:33], off
	v_lshl_add_u64 v[36:37], s[46:47], 0, v[30:31]
	v_add_u32_e32 v28, s34, v28
	v_cmp_ge_i32_e32 vcc, v28, v3
	v_lshl_add_u64 v[30:31], v[30:31], 0, s[54:55]
	s_or_b64 s[4:5], vcc, s[4:5]
	s_waitcnt vmcnt(0)
	v_mul_f64 v[34:35], v[26:27], v[34:35]
	global_store_dwordx2 v[32:33], v[34:35], off
	global_load_dwordx2 v[32:33], v[36:37], off
	s_waitcnt vmcnt(0)
	v_mul_f64 v[32:33], v[26:27], v[32:33]
	global_store_dwordx2 v[36:37], v[32:33], off
	s_andn2_b64 exec, exec, s[4:5]
	s_cbranch_execnz .LBB12_215
.LBB12_216:                             ;   in Loop: Header=BB12_7 Depth=1
	s_or_b64 exec, exec, s[0:1]
.LBB12_217:                             ;   in Loop: Header=BB12_7 Depth=1
	v_cmp_ngt_f64_e32 vcc, s[30:31], v[0:1]
	s_cbranch_vccnz .LBB12_5
; %bb.218:                              ;   in Loop: Header=BB12_7 Depth=1
	v_div_scale_f64 v[26:27], s[0:1], v[0:1], v[0:1], s[30:31]
	v_rcp_f64_e32 v[28:29], v[26:27]
	ds_read2_b32 v[2:3], v6 offset0:7 offset1:10
	v_fma_f64 v[30:31], -v[26:27], v[28:29], 1.0
	v_fmac_f64_e32 v[28:29], v[28:29], v[30:31]
	v_fma_f64 v[30:31], -v[26:27], v[28:29], 1.0
	v_fmac_f64_e32 v[28:29], v[28:29], v[30:31]
	v_div_scale_f64 v[30:31], vcc, s[30:31], v[0:1], s[30:31]
	v_mul_f64 v[32:33], v[30:31], v[28:29]
	v_fma_f64 v[26:27], -v[26:27], v[32:33], v[30:31]
	s_nop 1
	v_div_fmas_f64 v[26:27], v[26:27], v[28:29], v[32:33]
	v_div_fixup_f64 v[0:1], v[26:27], v[0:1], s[30:31]
	s_and_saveexec_b64 s[0:1], s[8:9]
	s_cbranch_execz .LBB12_220
; %bb.219:                              ;   in Loop: Header=BB12_7 Depth=1
	s_waitcnt lgkmcnt(0)
	v_ashrrev_i32_e32 v27, 31, v3
	v_mov_b32_e32 v26, v3
	v_lshlrev_b64 v[26:27], 3, v[26:27]
	v_lshl_add_u64 v[26:27], s[22:23], 0, v[26:27]
	global_load_dwordx2 v[28:29], v[26:27], off
	s_waitcnt vmcnt(0)
	v_mul_f64 v[28:29], v[0:1], v[28:29]
	global_store_dwordx2 v[26:27], v[28:29], off
.LBB12_220:                             ;   in Loop: Header=BB12_7 Depth=1
	s_or_b64 exec, exec, s[0:1]
	s_waitcnt lgkmcnt(0)
	v_add_u32_e32 v26, v2, v4
	v_cmp_lt_i32_e32 vcc, v26, v3
	s_and_saveexec_b64 s[0:1], vcc
	s_cbranch_execz .LBB12_4
; %bb.221:                              ;   in Loop: Header=BB12_7 Depth=1
	v_ashrrev_i32_e32 v27, 31, v26
	v_lshlrev_b64 v[28:29], 3, v[26:27]
	s_mov_b64 s[4:5], 0
.LBB12_222:                             ;   Parent Loop BB12_7 Depth=1
                                        ; =>  This Inner Loop Header: Depth=2
	v_lshl_add_u64 v[30:31], s[22:23], 0, v[28:29]
	global_load_dwordx2 v[32:33], v[30:31], off
	v_lshl_add_u64 v[34:35], s[46:47], 0, v[28:29]
	v_add_u32_e32 v26, s34, v26
	v_cmp_ge_i32_e32 vcc, v26, v3
	v_lshl_add_u64 v[28:29], v[28:29], 0, s[54:55]
	s_or_b64 s[4:5], vcc, s[4:5]
	s_waitcnt vmcnt(0)
	v_mul_f64 v[32:33], v[0:1], v[32:33]
	global_store_dwordx2 v[30:31], v[32:33], off
	global_load_dwordx2 v[30:31], v[34:35], off
	s_waitcnt vmcnt(0)
	v_mul_f64 v[30:31], v[0:1], v[30:31]
	global_store_dwordx2 v[34:35], v[30:31], off
	s_andn2_b64 exec, exec, s[4:5]
	s_cbranch_execnz .LBB12_222
	s_branch .LBB12_4
.LBB12_223:
	v_cmp_gt_i32_e32 vcc, s40, v4
	s_and_saveexec_b64 s[0:1], vcc
	s_cbranch_execz .LBB12_229
; %bb.224:
	s_lshl_b64 s[2:3], s[38:39], 2
	s_add_u32 s2, s18, s2
	s_addc_u32 s3, s19, s3
	s_lshl_b64 s[4:5], s[42:43], 3
	s_add_u32 s4, s24, s4
	v_ashrrev_i32_e32 v5, 31, v4
	s_addc_u32 s5, s25, s5
	s_ashr_i32 s35, s34, 31
	v_lshl_add_u64 v[0:1], v[4:5], 3, s[4:5]
	s_lshl_b64 s[4:5], s[34:35], 3
	s_mov_b64 s[6:7], 0
	v_mov_b32_e32 v2, 0
	s_branch .LBB12_226
.LBB12_225:                             ;   in Loop: Header=BB12_226 Depth=1
	s_or_b64 exec, exec, s[18:19]
	v_add_u32_e32 v4, s34, v4
	v_cmp_le_i32_e32 vcc, s40, v4
	s_or_b64 s[6:7], vcc, s[6:7]
	v_lshl_add_u64 v[0:1], v[0:1], 0, s[4:5]
	s_andn2_b64 exec, exec, s[6:7]
	s_cbranch_execz .LBB12_229
.LBB12_226:                             ; =>This Inner Loop Header: Depth=1
	global_load_dwordx2 v[6:7], v[0:1], off
	s_waitcnt vmcnt(0)
	v_cmp_neq_f64_e32 vcc, 0, v[6:7]
	s_and_saveexec_b64 s[18:19], vcc
	s_cbranch_execz .LBB12_225
; %bb.227:                              ;   in Loop: Header=BB12_226 Depth=1
	s_mov_b64 s[24:25], exec
	v_mbcnt_lo_u32_b32 v3, s24, 0
	v_mbcnt_hi_u32_b32 v3, s25, v3
	v_cmp_eq_u32_e32 vcc, 0, v3
	s_and_b64 s[28:29], exec, vcc
	s_mov_b64 exec, s[28:29]
	s_cbranch_execz .LBB12_225
; %bb.228:                              ;   in Loop: Header=BB12_226 Depth=1
	s_bcnt1_i32_b64 s11, s[24:25]
	v_mov_b32_e32 v3, s11
	global_atomic_add v2, v3, s[2:3]
	s_branch .LBB12_225
.LBB12_229:
	s_or_b64 exec, exec, s[0:1]
	s_cmp_lt_i32 s10, 2
	s_cbranch_scc1 .LBB12_242
; %bb.230:
	s_add_u32 s0, s20, s36
	s_addc_u32 s1, s21, s37
	s_add_u32 s0, s0, 8
	s_addc_u32 s1, s1, 0
	s_lshl_b64 s[2:3], s[16:17], 3
	s_lshl_b64 s[4:5], s[26:27], 3
	s_add_u32 s2, s2, s4
	s_addc_u32 s3, s3, s5
	s_add_u32 s11, s12, s2
	s_addc_u32 s14, s13, s3
	s_mov_b32 s2, 1
	v_mov_b32_e32 v6, 0
	s_branch .LBB12_232
.LBB12_231:                             ;   in Loop: Header=BB12_232 Depth=1
	s_add_i32 s2, s2, 1
	s_add_u32 s0, s0, 8
	s_addc_u32 s1, s1, 0
	s_cmp_lg_u32 s2, s10
	s_barrier
	s_cbranch_scc0 .LBB12_242
.LBB12_232:                             ; =>This Loop Header: Depth=1
                                        ;     Child Loop BB12_235 Depth 2
                                        ;     Child Loop BB12_241 Depth 2
	s_and_saveexec_b64 s[4:5], s[8:9]
	s_cbranch_execz .LBB12_239
; %bb.233:                              ;   in Loop: Header=BB12_232 Depth=1
	s_ashr_i32 s3, s2, 31
	s_add_i32 s17, s2, -1
	s_lshl_b64 s[6:7], s[2:3], 3
	s_add_u32 s6, s22, s6
	s_addc_u32 s7, s23, s7
	global_load_dwordx2 v[0:1], v6, s[6:7] offset:-8
	v_mov_b32_e32 v2, s17
	v_mov_b32_e32 v3, s17
	s_mov_b64 s[12:13], s[0:1]
	s_mov_b32 s3, s2
	s_mov_b32 s16, s17
	s_waitcnt vmcnt(0)
	ds_write2_b64 v6, v[0:1], v[2:3] offset1:2
	v_mov_b64_e32 v[2:3], v[0:1]
	s_branch .LBB12_235
.LBB12_234:                             ;   in Loop: Header=BB12_235 Depth=2
	s_add_i32 s3, s3, 1
	s_add_u32 s12, s12, 8
	s_addc_u32 s13, s13, 0
	s_cmp_eq_u32 s10, s3
	s_cbranch_scc1 .LBB12_237
.LBB12_235:                             ;   Parent Loop BB12_232 Depth=1
                                        ; =>  This Inner Loop Header: Depth=2
	global_load_dwordx2 v[4:5], v6, s[12:13]
	s_waitcnt vmcnt(0)
	v_cmp_nlt_f64_e32 vcc, v[4:5], v[2:3]
	s_cbranch_vccnz .LBB12_234
; %bb.236:                              ;   in Loop: Header=BB12_235 Depth=2
	v_mov_b32_e32 v2, s3
	ds_write_b32 v6, v2 offset:20
	ds_write_b64 v6, v[4:5]
	s_mov_b32 s16, s3
	v_mov_b64_e32 v[2:3], v[4:5]
	s_branch .LBB12_234
.LBB12_237:                             ;   in Loop: Header=BB12_232 Depth=1
	s_cmp_lg_u32 s16, s17
	s_cbranch_scc0 .LBB12_239
; %bb.238:                              ;   in Loop: Header=BB12_232 Depth=1
	s_ashr_i32 s17, s16, 31
	s_lshl_b64 s[12:13], s[16:17], 3
	s_add_u32 s12, s22, s12
	s_addc_u32 s13, s23, s13
	global_store_dwordx2 v6, v[0:1], s[12:13]
	global_store_dwordx2 v6, v[2:3], s[6:7] offset:-8
.LBB12_239:                             ;   in Loop: Header=BB12_232 Depth=1
	s_or_b64 exec, exec, s[4:5]
	s_waitcnt lgkmcnt(0)
	s_barrier
	ds_read_b64 v[0:1], v6 offset:16
	s_waitcnt lgkmcnt(0)
	v_readfirstlane_b32 s3, v0
	v_readfirstlane_b32 s4, v1
	s_cmp_eq_u32 s4, s3
	s_cbranch_scc1 .LBB12_231
; %bb.240:                              ;   in Loop: Header=BB12_232 Depth=1
	s_mul_i32 s4, s4, s15
	s_ashr_i32 s5, s4, 31
	s_lshl_b64 s[4:5], s[4:5], 3
	s_mul_i32 s6, s3, s15
	s_add_u32 s4, s11, s4
	s_addc_u32 s5, s14, s5
	s_ashr_i32 s7, s6, 31
	s_lshl_b64 s[6:7], s[6:7], 3
	s_add_u32 s6, s11, s6
	s_addc_u32 s7, s14, s7
	s_mov_b32 s3, s10
.LBB12_241:                             ;   Parent Loop BB12_232 Depth=1
                                        ; =>  This Inner Loop Header: Depth=2
	global_load_dwordx2 v[0:1], v6, s[4:5]
	global_load_dwordx2 v[2:3], v6, s[6:7]
	s_add_i32 s3, s3, -1
	s_waitcnt vmcnt(1)
	global_store_dwordx2 v6, v[0:1], s[6:7]
	s_waitcnt vmcnt(1)
	global_store_dwordx2 v6, v[2:3], s[4:5]
	s_add_u32 s4, s4, 8
	s_addc_u32 s5, s5, 0
	s_add_u32 s6, s6, 8
	s_addc_u32 s7, s7, 0
	s_cmp_lg_u32 s3, 0
	s_cbranch_scc1 .LBB12_241
	s_branch .LBB12_231
.LBB12_242:
	s_endpgm
	.section	.rodata,"a",@progbits
	.p2align	6, 0x0
	.amdhsa_kernel _ZN9rocsolver6v33100L12steqr_kernelIddPdEEviPT0_lS4_lT1_iilPiS4_iS3_S3_S3_
		.amdhsa_group_segment_fixed_size 48
		.amdhsa_private_segment_fixed_size 0
		.amdhsa_kernarg_size 368
		.amdhsa_user_sgpr_count 2
		.amdhsa_user_sgpr_dispatch_ptr 0
		.amdhsa_user_sgpr_queue_ptr 0
		.amdhsa_user_sgpr_kernarg_segment_ptr 1
		.amdhsa_user_sgpr_dispatch_id 0
		.amdhsa_user_sgpr_kernarg_preload_length 0
		.amdhsa_user_sgpr_kernarg_preload_offset 0
		.amdhsa_user_sgpr_private_segment_size 0
		.amdhsa_uses_dynamic_stack 0
		.amdhsa_enable_private_segment 0
		.amdhsa_system_sgpr_workgroup_id_x 1
		.amdhsa_system_sgpr_workgroup_id_y 1
		.amdhsa_system_sgpr_workgroup_id_z 0
		.amdhsa_system_sgpr_workgroup_info 0
		.amdhsa_system_vgpr_workitem_id 0
		.amdhsa_next_free_vgpr 70
		.amdhsa_next_free_sgpr 100
		.amdhsa_accum_offset 72
		.amdhsa_reserve_vcc 1
		.amdhsa_float_round_mode_32 0
		.amdhsa_float_round_mode_16_64 0
		.amdhsa_float_denorm_mode_32 3
		.amdhsa_float_denorm_mode_16_64 3
		.amdhsa_dx10_clamp 1
		.amdhsa_ieee_mode 1
		.amdhsa_fp16_overflow 0
		.amdhsa_tg_split 0
		.amdhsa_exception_fp_ieee_invalid_op 0
		.amdhsa_exception_fp_denorm_src 0
		.amdhsa_exception_fp_ieee_div_zero 0
		.amdhsa_exception_fp_ieee_overflow 0
		.amdhsa_exception_fp_ieee_underflow 0
		.amdhsa_exception_fp_ieee_inexact 0
		.amdhsa_exception_int_div_zero 0
	.end_amdhsa_kernel
	.section	.text._ZN9rocsolver6v33100L12steqr_kernelIddPdEEviPT0_lS4_lT1_iilPiS4_iS3_S3_S3_,"axG",@progbits,_ZN9rocsolver6v33100L12steqr_kernelIddPdEEviPT0_lS4_lT1_iilPiS4_iS3_S3_S3_,comdat
.Lfunc_end12:
	.size	_ZN9rocsolver6v33100L12steqr_kernelIddPdEEviPT0_lS4_lT1_iilPiS4_iS3_S3_S3_, .Lfunc_end12-_ZN9rocsolver6v33100L12steqr_kernelIddPdEEviPT0_lS4_lT1_iilPiS4_iS3_S3_S3_
                                        ; -- End function
	.set _ZN9rocsolver6v33100L12steqr_kernelIddPdEEviPT0_lS4_lT1_iilPiS4_iS3_S3_S3_.num_vgpr, 70
	.set _ZN9rocsolver6v33100L12steqr_kernelIddPdEEviPT0_lS4_lT1_iilPiS4_iS3_S3_S3_.num_agpr, 0
	.set _ZN9rocsolver6v33100L12steqr_kernelIddPdEEviPT0_lS4_lT1_iilPiS4_iS3_S3_S3_.numbered_sgpr, 100
	.set _ZN9rocsolver6v33100L12steqr_kernelIddPdEEviPT0_lS4_lT1_iilPiS4_iS3_S3_S3_.num_named_barrier, 0
	.set _ZN9rocsolver6v33100L12steqr_kernelIddPdEEviPT0_lS4_lT1_iilPiS4_iS3_S3_S3_.private_seg_size, 0
	.set _ZN9rocsolver6v33100L12steqr_kernelIddPdEEviPT0_lS4_lT1_iilPiS4_iS3_S3_S3_.uses_vcc, 1
	.set _ZN9rocsolver6v33100L12steqr_kernelIddPdEEviPT0_lS4_lT1_iilPiS4_iS3_S3_S3_.uses_flat_scratch, 0
	.set _ZN9rocsolver6v33100L12steqr_kernelIddPdEEviPT0_lS4_lT1_iilPiS4_iS3_S3_S3_.has_dyn_sized_stack, 0
	.set _ZN9rocsolver6v33100L12steqr_kernelIddPdEEviPT0_lS4_lT1_iilPiS4_iS3_S3_S3_.has_recursion, 0
	.set _ZN9rocsolver6v33100L12steqr_kernelIddPdEEviPT0_lS4_lT1_iilPiS4_iS3_S3_S3_.has_indirect_call, 0
	.section	.AMDGPU.csdata,"",@progbits
; Kernel info:
; codeLenInByte = 13428
; TotalNumSgprs: 106
; NumVgprs: 70
; NumAgprs: 0
; TotalNumVgprs: 70
; ScratchSize: 0
; MemoryBound: 0
; FloatMode: 240
; IeeeMode: 1
; LDSByteSize: 48 bytes/workgroup (compile time only)
; SGPRBlocks: 13
; VGPRBlocks: 8
; NumSGPRsForWavesPerEU: 106
; NumVGPRsForWavesPerEU: 70
; AccumOffset: 72
; Occupancy: 7
; WaveLimiterHint : 0
; COMPUTE_PGM_RSRC2:SCRATCH_EN: 0
; COMPUTE_PGM_RSRC2:USER_SGPR: 2
; COMPUTE_PGM_RSRC2:TRAP_HANDLER: 0
; COMPUTE_PGM_RSRC2:TGID_X_EN: 1
; COMPUTE_PGM_RSRC2:TGID_Y_EN: 1
; COMPUTE_PGM_RSRC2:TGID_Z_EN: 0
; COMPUTE_PGM_RSRC2:TIDIG_COMP_CNT: 0
; COMPUTE_PGM_RSRC3_GFX90A:ACCUM_OFFSET: 17
; COMPUTE_PGM_RSRC3_GFX90A:TG_SPLIT: 0
	.section	.text._ZN9rocsolver6v33100L16reset_batch_infoI19rocblas_complex_numIfEiiPS3_EEvT2_lT0_T1_,"axG",@progbits,_ZN9rocsolver6v33100L16reset_batch_infoI19rocblas_complex_numIfEiiPS3_EEvT2_lT0_T1_,comdat
	.globl	_ZN9rocsolver6v33100L16reset_batch_infoI19rocblas_complex_numIfEiiPS3_EEvT2_lT0_T1_ ; -- Begin function _ZN9rocsolver6v33100L16reset_batch_infoI19rocblas_complex_numIfEiiPS3_EEvT2_lT0_T1_
	.p2align	8
	.type	_ZN9rocsolver6v33100L16reset_batch_infoI19rocblas_complex_numIfEiiPS3_EEvT2_lT0_T1_,@function
_ZN9rocsolver6v33100L16reset_batch_infoI19rocblas_complex_numIfEiiPS3_EEvT2_lT0_T1_: ; @_ZN9rocsolver6v33100L16reset_batch_infoI19rocblas_complex_numIfEiiPS3_EEvT2_lT0_T1_
; %bb.0:
	s_load_dword s6, s[0:1], 0x24
	s_load_dwordx2 s[4:5], s[0:1], 0x10
	s_waitcnt lgkmcnt(0)
	s_and_b32 s6, s6, 0xffff
	s_mul_i32 s2, s2, s6
	v_add_u32_e32 v0, s2, v0
	v_cmp_gt_i32_e32 vcc, s4, v0
	s_and_saveexec_b64 s[6:7], vcc
	s_cbranch_execz .LBB13_2
; %bb.1:
	s_load_dwordx4 s[8:11], s[0:1], 0x0
	s_ashr_i32 s0, s3, 31
	v_cvt_f32_i32_e32 v2, s5
	v_ashrrev_i32_e32 v1, 31, v0
	v_mov_b32_e32 v3, 0
	s_waitcnt lgkmcnt(0)
	s_mul_hi_u32 s1, s10, s3
	s_mul_i32 s2, s10, s0
	s_mul_i32 s4, s11, s3
	s_add_i32 s1, s1, s2
	s_mul_i32 s0, s10, s3
	s_add_i32 s1, s1, s4
	s_lshl_b64 s[0:1], s[0:1], 3
	s_add_u32 s0, s8, s0
	s_addc_u32 s1, s9, s1
	v_lshl_add_u64 v[0:1], v[0:1], 3, s[0:1]
	global_store_dwordx2 v[0:1], v[2:3], off
.LBB13_2:
	s_endpgm
	.section	.rodata,"a",@progbits
	.p2align	6, 0x0
	.amdhsa_kernel _ZN9rocsolver6v33100L16reset_batch_infoI19rocblas_complex_numIfEiiPS3_EEvT2_lT0_T1_
		.amdhsa_group_segment_fixed_size 0
		.amdhsa_private_segment_fixed_size 0
		.amdhsa_kernarg_size 280
		.amdhsa_user_sgpr_count 2
		.amdhsa_user_sgpr_dispatch_ptr 0
		.amdhsa_user_sgpr_queue_ptr 0
		.amdhsa_user_sgpr_kernarg_segment_ptr 1
		.amdhsa_user_sgpr_dispatch_id 0
		.amdhsa_user_sgpr_kernarg_preload_length 0
		.amdhsa_user_sgpr_kernarg_preload_offset 0
		.amdhsa_user_sgpr_private_segment_size 0
		.amdhsa_uses_dynamic_stack 0
		.amdhsa_enable_private_segment 0
		.amdhsa_system_sgpr_workgroup_id_x 1
		.amdhsa_system_sgpr_workgroup_id_y 1
		.amdhsa_system_sgpr_workgroup_id_z 0
		.amdhsa_system_sgpr_workgroup_info 0
		.amdhsa_system_vgpr_workitem_id 0
		.amdhsa_next_free_vgpr 4
		.amdhsa_next_free_sgpr 12
		.amdhsa_accum_offset 4
		.amdhsa_reserve_vcc 1
		.amdhsa_float_round_mode_32 0
		.amdhsa_float_round_mode_16_64 0
		.amdhsa_float_denorm_mode_32 3
		.amdhsa_float_denorm_mode_16_64 3
		.amdhsa_dx10_clamp 1
		.amdhsa_ieee_mode 1
		.amdhsa_fp16_overflow 0
		.amdhsa_tg_split 0
		.amdhsa_exception_fp_ieee_invalid_op 0
		.amdhsa_exception_fp_denorm_src 0
		.amdhsa_exception_fp_ieee_div_zero 0
		.amdhsa_exception_fp_ieee_overflow 0
		.amdhsa_exception_fp_ieee_underflow 0
		.amdhsa_exception_fp_ieee_inexact 0
		.amdhsa_exception_int_div_zero 0
	.end_amdhsa_kernel
	.section	.text._ZN9rocsolver6v33100L16reset_batch_infoI19rocblas_complex_numIfEiiPS3_EEvT2_lT0_T1_,"axG",@progbits,_ZN9rocsolver6v33100L16reset_batch_infoI19rocblas_complex_numIfEiiPS3_EEvT2_lT0_T1_,comdat
.Lfunc_end13:
	.size	_ZN9rocsolver6v33100L16reset_batch_infoI19rocblas_complex_numIfEiiPS3_EEvT2_lT0_T1_, .Lfunc_end13-_ZN9rocsolver6v33100L16reset_batch_infoI19rocblas_complex_numIfEiiPS3_EEvT2_lT0_T1_
                                        ; -- End function
	.set _ZN9rocsolver6v33100L16reset_batch_infoI19rocblas_complex_numIfEiiPS3_EEvT2_lT0_T1_.num_vgpr, 4
	.set _ZN9rocsolver6v33100L16reset_batch_infoI19rocblas_complex_numIfEiiPS3_EEvT2_lT0_T1_.num_agpr, 0
	.set _ZN9rocsolver6v33100L16reset_batch_infoI19rocblas_complex_numIfEiiPS3_EEvT2_lT0_T1_.numbered_sgpr, 12
	.set _ZN9rocsolver6v33100L16reset_batch_infoI19rocblas_complex_numIfEiiPS3_EEvT2_lT0_T1_.num_named_barrier, 0
	.set _ZN9rocsolver6v33100L16reset_batch_infoI19rocblas_complex_numIfEiiPS3_EEvT2_lT0_T1_.private_seg_size, 0
	.set _ZN9rocsolver6v33100L16reset_batch_infoI19rocblas_complex_numIfEiiPS3_EEvT2_lT0_T1_.uses_vcc, 1
	.set _ZN9rocsolver6v33100L16reset_batch_infoI19rocblas_complex_numIfEiiPS3_EEvT2_lT0_T1_.uses_flat_scratch, 0
	.set _ZN9rocsolver6v33100L16reset_batch_infoI19rocblas_complex_numIfEiiPS3_EEvT2_lT0_T1_.has_dyn_sized_stack, 0
	.set _ZN9rocsolver6v33100L16reset_batch_infoI19rocblas_complex_numIfEiiPS3_EEvT2_lT0_T1_.has_recursion, 0
	.set _ZN9rocsolver6v33100L16reset_batch_infoI19rocblas_complex_numIfEiiPS3_EEvT2_lT0_T1_.has_indirect_call, 0
	.section	.AMDGPU.csdata,"",@progbits
; Kernel info:
; codeLenInByte = 132
; TotalNumSgprs: 18
; NumVgprs: 4
; NumAgprs: 0
; TotalNumVgprs: 4
; ScratchSize: 0
; MemoryBound: 0
; FloatMode: 240
; IeeeMode: 1
; LDSByteSize: 0 bytes/workgroup (compile time only)
; SGPRBlocks: 2
; VGPRBlocks: 0
; NumSGPRsForWavesPerEU: 18
; NumVGPRsForWavesPerEU: 4
; AccumOffset: 4
; Occupancy: 8
; WaveLimiterHint : 0
; COMPUTE_PGM_RSRC2:SCRATCH_EN: 0
; COMPUTE_PGM_RSRC2:USER_SGPR: 2
; COMPUTE_PGM_RSRC2:TRAP_HANDLER: 0
; COMPUTE_PGM_RSRC2:TGID_X_EN: 1
; COMPUTE_PGM_RSRC2:TGID_Y_EN: 1
; COMPUTE_PGM_RSRC2:TGID_Z_EN: 0
; COMPUTE_PGM_RSRC2:TIDIG_COMP_CNT: 0
; COMPUTE_PGM_RSRC3_GFX90A:ACCUM_OFFSET: 0
; COMPUTE_PGM_RSRC3_GFX90A:TG_SPLIT: 0
	.section	.text._ZN9rocsolver6v33100L10init_identI19rocblas_complex_numIfEPS3_EEviiT0_iil,"axG",@progbits,_ZN9rocsolver6v33100L10init_identI19rocblas_complex_numIfEPS3_EEviiT0_iil,comdat
	.globl	_ZN9rocsolver6v33100L10init_identI19rocblas_complex_numIfEPS3_EEviiT0_iil ; -- Begin function _ZN9rocsolver6v33100L10init_identI19rocblas_complex_numIfEPS3_EEviiT0_iil
	.p2align	8
	.type	_ZN9rocsolver6v33100L10init_identI19rocblas_complex_numIfEPS3_EEviiT0_iil,@function
_ZN9rocsolver6v33100L10init_identI19rocblas_complex_numIfEPS3_EEviiT0_iil: ; @_ZN9rocsolver6v33100L10init_identI19rocblas_complex_numIfEPS3_EEviiT0_iil
; %bb.0:
	s_load_dword s5, s[0:1], 0x2c
	s_load_dwordx2 s[6:7], s[0:1], 0x0
	v_and_b32_e32 v1, 0x3ff, v0
	v_bfe_u32 v0, v0, 10, 10
	s_waitcnt lgkmcnt(0)
	s_lshr_b32 s8, s5, 16
	s_and_b32 s5, s5, 0xffff
	s_mul_i32 s2, s2, s5
	s_mul_i32 s3, s3, s8
	v_add_u32_e32 v2, s2, v1
	v_add_u32_e32 v1, s3, v0
	v_cmp_gt_u32_e32 vcc, s6, v2
	v_cmp_gt_u32_e64 s[2:3], s7, v1
	s_and_b64 s[2:3], vcc, s[2:3]
	s_and_saveexec_b64 s[6:7], s[2:3]
	s_cbranch_execz .LBB14_6
; %bb.1:
	s_load_dwordx2 s[2:3], s[0:1], 0x10
	v_cmp_ne_u32_e32 vcc, v2, v1
                                        ; implicit-def: $vgpr0
	s_and_saveexec_b64 s[6:7], vcc
	s_xor_b64 s[6:7], exec, s[6:7]
	s_cbranch_execz .LBB14_3
; %bb.2:
	s_waitcnt lgkmcnt(0)
	v_mad_u64_u32 v[0:1], s[8:9], v1, s3, v[2:3]
                                        ; implicit-def: $vgpr2
.LBB14_3:
	s_or_saveexec_b64 s[6:7], s[6:7]
	v_mov_b32_e32 v1, 0
	v_mov_b32_e32 v4, 0
	s_xor_b64 exec, exec, s[6:7]
	s_cbranch_execz .LBB14_5
; %bb.4:
	s_waitcnt lgkmcnt(0)
	v_mad_u64_u32 v[2:3], s[8:9], v2, s3, v[2:3]
	v_mov_b32_e32 v4, 1.0
	v_mov_b32_e32 v0, v2
.LBB14_5:
	s_or_b64 exec, exec, s[6:7]
	s_load_dwordx2 s[6:7], s[0:1], 0x18
	s_load_dwordx2 s[8:9], s[0:1], 0x8
	s_waitcnt lgkmcnt(0)
	s_ashr_i32 s3, s2, 31
	v_mov_b32_e32 v5, v1
	s_mul_i32 s1, s7, s4
	s_mul_hi_u32 s5, s6, s4
	s_mul_i32 s0, s6, s4
	s_add_i32 s1, s5, s1
	s_lshl_b64 s[0:1], s[0:1], 3
	s_add_u32 s4, s8, s0
	s_addc_u32 s5, s9, s1
	s_lshl_b64 s[0:1], s[2:3], 3
	s_add_u32 s0, s4, s0
	s_addc_u32 s1, s5, s1
	v_lshl_add_u64 v[2:3], v[0:1], 3, s[0:1]
	global_store_dwordx2 v[2:3], v[4:5], off
.LBB14_6:
	s_endpgm
	.section	.rodata,"a",@progbits
	.p2align	6, 0x0
	.amdhsa_kernel _ZN9rocsolver6v33100L10init_identI19rocblas_complex_numIfEPS3_EEviiT0_iil
		.amdhsa_group_segment_fixed_size 0
		.amdhsa_private_segment_fixed_size 0
		.amdhsa_kernarg_size 288
		.amdhsa_user_sgpr_count 2
		.amdhsa_user_sgpr_dispatch_ptr 0
		.amdhsa_user_sgpr_queue_ptr 0
		.amdhsa_user_sgpr_kernarg_segment_ptr 1
		.amdhsa_user_sgpr_dispatch_id 0
		.amdhsa_user_sgpr_kernarg_preload_length 0
		.amdhsa_user_sgpr_kernarg_preload_offset 0
		.amdhsa_user_sgpr_private_segment_size 0
		.amdhsa_uses_dynamic_stack 0
		.amdhsa_enable_private_segment 0
		.amdhsa_system_sgpr_workgroup_id_x 1
		.amdhsa_system_sgpr_workgroup_id_y 1
		.amdhsa_system_sgpr_workgroup_id_z 1
		.amdhsa_system_sgpr_workgroup_info 0
		.amdhsa_system_vgpr_workitem_id 1
		.amdhsa_next_free_vgpr 6
		.amdhsa_next_free_sgpr 10
		.amdhsa_accum_offset 8
		.amdhsa_reserve_vcc 1
		.amdhsa_float_round_mode_32 0
		.amdhsa_float_round_mode_16_64 0
		.amdhsa_float_denorm_mode_32 3
		.amdhsa_float_denorm_mode_16_64 3
		.amdhsa_dx10_clamp 1
		.amdhsa_ieee_mode 1
		.amdhsa_fp16_overflow 0
		.amdhsa_tg_split 0
		.amdhsa_exception_fp_ieee_invalid_op 0
		.amdhsa_exception_fp_denorm_src 0
		.amdhsa_exception_fp_ieee_div_zero 0
		.amdhsa_exception_fp_ieee_overflow 0
		.amdhsa_exception_fp_ieee_underflow 0
		.amdhsa_exception_fp_ieee_inexact 0
		.amdhsa_exception_int_div_zero 0
	.end_amdhsa_kernel
	.section	.text._ZN9rocsolver6v33100L10init_identI19rocblas_complex_numIfEPS3_EEviiT0_iil,"axG",@progbits,_ZN9rocsolver6v33100L10init_identI19rocblas_complex_numIfEPS3_EEviiT0_iil,comdat
.Lfunc_end14:
	.size	_ZN9rocsolver6v33100L10init_identI19rocblas_complex_numIfEPS3_EEviiT0_iil, .Lfunc_end14-_ZN9rocsolver6v33100L10init_identI19rocblas_complex_numIfEPS3_EEviiT0_iil
                                        ; -- End function
	.set _ZN9rocsolver6v33100L10init_identI19rocblas_complex_numIfEPS3_EEviiT0_iil.num_vgpr, 6
	.set _ZN9rocsolver6v33100L10init_identI19rocblas_complex_numIfEPS3_EEviiT0_iil.num_agpr, 0
	.set _ZN9rocsolver6v33100L10init_identI19rocblas_complex_numIfEPS3_EEviiT0_iil.numbered_sgpr, 10
	.set _ZN9rocsolver6v33100L10init_identI19rocblas_complex_numIfEPS3_EEviiT0_iil.num_named_barrier, 0
	.set _ZN9rocsolver6v33100L10init_identI19rocblas_complex_numIfEPS3_EEviiT0_iil.private_seg_size, 0
	.set _ZN9rocsolver6v33100L10init_identI19rocblas_complex_numIfEPS3_EEviiT0_iil.uses_vcc, 1
	.set _ZN9rocsolver6v33100L10init_identI19rocblas_complex_numIfEPS3_EEviiT0_iil.uses_flat_scratch, 0
	.set _ZN9rocsolver6v33100L10init_identI19rocblas_complex_numIfEPS3_EEviiT0_iil.has_dyn_sized_stack, 0
	.set _ZN9rocsolver6v33100L10init_identI19rocblas_complex_numIfEPS3_EEviiT0_iil.has_recursion, 0
	.set _ZN9rocsolver6v33100L10init_identI19rocblas_complex_numIfEPS3_EEviiT0_iil.has_indirect_call, 0
	.section	.AMDGPU.csdata,"",@progbits
; Kernel info:
; codeLenInByte = 256
; TotalNumSgprs: 16
; NumVgprs: 6
; NumAgprs: 0
; TotalNumVgprs: 6
; ScratchSize: 0
; MemoryBound: 0
; FloatMode: 240
; IeeeMode: 1
; LDSByteSize: 0 bytes/workgroup (compile time only)
; SGPRBlocks: 1
; VGPRBlocks: 0
; NumSGPRsForWavesPerEU: 16
; NumVGPRsForWavesPerEU: 6
; AccumOffset: 8
; Occupancy: 8
; WaveLimiterHint : 0
; COMPUTE_PGM_RSRC2:SCRATCH_EN: 0
; COMPUTE_PGM_RSRC2:USER_SGPR: 2
; COMPUTE_PGM_RSRC2:TRAP_HANDLER: 0
; COMPUTE_PGM_RSRC2:TGID_X_EN: 1
; COMPUTE_PGM_RSRC2:TGID_Y_EN: 1
; COMPUTE_PGM_RSRC2:TGID_Z_EN: 1
; COMPUTE_PGM_RSRC2:TIDIG_COMP_CNT: 1
; COMPUTE_PGM_RSRC3_GFX90A:ACCUM_OFFSET: 1
; COMPUTE_PGM_RSRC3_GFX90A:TG_SPLIT: 0
	.section	.text._ZN9rocsolver6v33100L11lasr_kernelI19rocblas_complex_numIfEfPS3_iEEv13rocblas_side_14rocblas_pivot_15rocblas_direct_T2_S8_PT0_lSA_lT1_lS8_lS8_,"axG",@progbits,_ZN9rocsolver6v33100L11lasr_kernelI19rocblas_complex_numIfEfPS3_iEEv13rocblas_side_14rocblas_pivot_15rocblas_direct_T2_S8_PT0_lSA_lT1_lS8_lS8_,comdat
	.globl	_ZN9rocsolver6v33100L11lasr_kernelI19rocblas_complex_numIfEfPS3_iEEv13rocblas_side_14rocblas_pivot_15rocblas_direct_T2_S8_PT0_lSA_lT1_lS8_lS8_ ; -- Begin function _ZN9rocsolver6v33100L11lasr_kernelI19rocblas_complex_numIfEfPS3_iEEv13rocblas_side_14rocblas_pivot_15rocblas_direct_T2_S8_PT0_lSA_lT1_lS8_lS8_
	.p2align	8
	.type	_ZN9rocsolver6v33100L11lasr_kernelI19rocblas_complex_numIfEfPS3_iEEv13rocblas_side_14rocblas_pivot_15rocblas_direct_T2_S8_PT0_lSA_lT1_lS8_lS8_,@function
_ZN9rocsolver6v33100L11lasr_kernelI19rocblas_complex_numIfEfPS3_iEEv13rocblas_side_14rocblas_pivot_15rocblas_direct_T2_S8_PT0_lSA_lT1_lS8_lS8_: ; @_ZN9rocsolver6v33100L11lasr_kernelI19rocblas_complex_numIfEfPS3_iEEv13rocblas_side_14rocblas_pivot_15rocblas_direct_T2_S8_PT0_lSA_lT1_lS8_lS8_
; %bb.0:
	s_load_dword s33, s[0:1], 0x58
	s_waitcnt lgkmcnt(0)
	s_cmp_ge_u32 s3, s33
	s_cbranch_scc1 .LBB15_108
; %bb.1:
	s_load_dwordx4 s[16:19], s[0:1], 0x38
	s_load_dword s20, s[0:1], 0x48
	s_load_dwordx2 s[22:23], s[0:1], 0x68
	s_load_dwordx4 s[4:7], s[0:1], 0x0
	s_load_dword s48, s[0:1], 0x10
	s_load_dwordx8 s[8:15], s[0:1], 0x18
	s_waitcnt lgkmcnt(0)
	s_ashr_i32 s21, s20, 31
	s_and_b32 s60, s23, 0xffff
	s_lshl_b64 s[72:73], s[18:19], 3
	s_add_u32 s18, s16, s72
	s_addc_u32 s19, s17, s73
	s_cmpk_eq_i32 s4, 0x8d
	s_cselect_b64 s[34:35], -1, 0
	s_cmpk_eq_i32 s4, 0x8e
	s_cselect_b64 s[42:43], -1, 0
	;; [unrolled: 2-line block ×7, first 2 shown]
	s_and_b64 s[30:31], s[34:35], s[4:5]
	s_and_b64 s[4:5], s[42:43], s[4:5]
	;; [unrolled: 1-line block ×3, first 2 shown]
	s_xor_b64 s[52:53], s[52:53], -1
                                        ; implicit-def: $vgpr46 : SGPR spill to VGPR lane
	s_and_b64 s[4:5], s[4:5], s[50:51]
	v_writelane_b32 v46, s52, 0
	s_xor_b64 s[4:5], s[4:5], -1
	s_and_b64 s[40:41], s[42:43], s[38:39]
	v_writelane_b32 v46, s53, 1
	v_writelane_b32 v46, s4, 2
	s_and_b64 s[42:43], s[42:43], s[44:45]
	s_mul_i32 s2, s2, s60
	v_writelane_b32 v46, s5, 3
	s_and_b64 s[4:5], s[42:43], s[46:47]
	s_xor_b64 s[4:5], s[4:5], -1
	v_add_u32_e32 v0, s2, v0
	v_writelane_b32 v46, s4, 4
	s_and_b64 s[26:27], s[34:35], s[38:39]
	s_and_b64 s[36:37], s[34:35], s[44:45]
	v_writelane_b32 v46, s5, 5
	v_cmp_gt_i32_e64 s[4:5], s7, v0
	s_and_b64 s[24:25], s[26:27], s[46:47]
	s_and_b64 s[26:27], s[26:27], s[50:51]
	;; [unrolled: 1-line block ×9, first 2 shown]
	s_xor_b64 s[24:25], s[24:25], -1
	s_xor_b64 s[26:27], s[26:27], -1
	;; [unrolled: 1-line block ×8, first 2 shown]
	s_and_b64 s[42:43], s[42:43], s[44:45]
	s_add_i32 s2, s48, -1
	s_add_i32 s50, s48, -2
	v_writelane_b32 v46, s42, 6
	s_cmp_gt_i32 s48, 1
	s_cselect_b64 s[52:53], -1, 0
	v_writelane_b32 v46, s43, 7
	s_ashr_i32 s55, s7, 31
	s_add_i32 s42, s7, -2
	s_cmp_gt_i32 s7, 1
	s_mov_b32 s51, 0
	s_cselect_b64 s[56:57], -1, 0
	s_lshl_b64 s[44:45], s[50:51], 2
	s_add_u32 s6, s8, s44
	s_addc_u32 s23, s9, s45
	s_lshl_b64 s[10:11], s[10:11], 2
	s_load_dword s54, s[0:1], 0x60
	s_load_dwordx2 s[58:59], s[0:1], 0x50
	s_add_u32 s49, s12, s44
	s_mul_i32 s43, s21, s50
	s_mul_hi_u32 s44, s20, s50
	s_addc_u32 s46, s13, s45
	s_add_i32 s45, s44, s43
	s_mul_i32 s44, s20, s50
	s_lshl_b64 s[14:15], s[14:15], 2
	s_lshl_b64 s[44:45], s[44:45], 3
	s_add_u32 s43, s44, s72
	s_addc_u32 s44, s45, s73
	s_add_u32 s0, s16, s43
	s_waitcnt lgkmcnt(0)
	s_mul_i32 s60, s54, s60
	s_addc_u32 s1, s17, s44
	s_ashr_i32 s61, s60, 31
	s_lshl_b64 s[62:63], s[58:59], 3
	s_lshl_b64 s[64:65], s[60:61], 3
	;; [unrolled: 1-line block ×3, first 2 shown]
	s_sub_u32 s68, 0, s66
	s_mul_i32 s21, s21, s2
	s_mul_hi_u32 s43, s20, s2
	s_mul_i32 s70, s20, s2
	s_subb_u32 s69, 0, s67
	s_add_i32 s45, s43, s21
	s_mov_b32 s44, s70
	s_lshl_b64 s[44:45], s[44:45], 3
	s_add_i32 s21, s48, 1
	s_add_u32 s43, s44, s72
	s_addc_u32 s44, s45, s73
	s_add_u32 s74, s16, s43
	s_addc_u32 s75, s17, s44
	v_mad_i64_i32 v[2:3], s[44:45], s20, v0, 0
	s_add_u32 s43, s72, s66
	s_addc_u32 s44, s73, s67
	s_add_u32 s76, s16, s43
	s_mov_b32 s43, s51
	s_addc_u32 s77, s17, s44
	s_add_i32 s50, s7, -1
	s_lshl_b64 s[44:45], s[42:43], 2
	s_add_u32 s47, s8, s44
	s_addc_u32 s61, s9, s45
	s_add_u32 s44, s12, s44
	s_addc_u32 s45, s13, s45
	s_lshl_b64 s[42:43], s[42:43], 3
	s_add_u32 s78, s16, s42
	s_addc_u32 s79, s17, s43
	s_mul_hi_i32 s43, s20, s60
	s_mul_i32 s42, s20, s60
	v_lshl_add_u64 v[12:13], v[2:3], 3, s[72:73]
	s_lshl_b64 s[72:73], s[42:43], 3
	s_add_i32 s42, s7, 1
	s_lshl_b64 s[80:81], s[50:51], 3
	s_add_u32 s80, s16, s80
	v_ashrrev_i32_e32 v1, 31, v0
	s_addc_u32 s81, s17, s81
	v_lshl_add_u64 v[2:3], s[16:17], 0, v[12:13]
	v_lshlrev_b64 v[14:15], 3, v[0:1]
	v_lshl_add_u64 v[10:11], s[78:79], 0, v[12:13]
	v_lshl_add_u64 v[4:5], s[0:1], 0, v[14:15]
	;; [unrolled: 1-line block ×5, first 2 shown]
	s_mul_hi_i32 s71, s20, s2
	s_mov_b32 s54, s7
	v_lshl_add_u64 v[14:15], s[18:19], 0, v[14:15]
	v_lshl_add_u64 v[16:17], v[2:3], 0, 8
	;; [unrolled: 1-line block ×3, first 2 shown]
	v_mov_b32_e32 v1, 0
	v_cmp_gt_i32_e64 s[0:1], s48, v0
	s_branch .LBB15_4
.LBB15_2:                               ;   in Loop: Header=BB15_4 Depth=1
	s_or_b64 exec, exec, s[78:79]
.LBB15_3:                               ;   in Loop: Header=BB15_4 Depth=1
	s_add_i32 s3, s3, s22
	s_cmp_ge_u32 s3, s33
	s_cbranch_scc1 .LBB15_108
.LBB15_4:                               ; =>This Loop Header: Depth=1
                                        ;     Child Loop BB15_19 Depth 2
                                        ;       Child Loop BB15_20 Depth 3
                                        ;     Child Loop BB15_26 Depth 2
                                        ;       Child Loop BB15_27 Depth 3
                                        ;     Child Loop BB15_34 Depth 2
                                        ;       Child Loop BB15_35 Depth 3
                                        ;     Child Loop BB15_42 Depth 2
                                        ;       Child Loop BB15_43 Depth 3
                                        ;     Child Loop BB15_50 Depth 2
                                        ;       Child Loop BB15_52 Depth 3
                                        ;     Child Loop BB15_59 Depth 2
                                        ;       Child Loop BB15_60 Depth 3
                                        ;     Child Loop BB15_67 Depth 2
                                        ;       Child Loop BB15_68 Depth 3
                                        ;     Child Loop BB15_75 Depth 2
                                        ;       Child Loop BB15_76 Depth 3
                                        ;     Child Loop BB15_83 Depth 2
                                        ;       Child Loop BB15_84 Depth 3
                                        ;     Child Loop BB15_91 Depth 2
                                        ;       Child Loop BB15_92 Depth 3
                                        ;     Child Loop BB15_99 Depth 2
                                        ;       Child Loop BB15_100 Depth 3
                                        ;     Child Loop BB15_106 Depth 2
                                        ;       Child Loop BB15_107 Depth 3
	v_mov_b32_e32 v20, s3
	v_mad_u64_u32 v[20:21], s[16:17], s62, v20, v[16:17]
	s_mul_i32 s16, s11, s3
	s_mul_hi_u32 s17, s10, s3
	s_add_i32 s43, s17, s16
	s_mul_i32 s51, s10, s3
	s_add_u32 s16, s8, s51
	s_mul_i32 s74, s15, s3
	s_mul_hi_u32 s75, s14, s3
	s_addc_u32 s17, s9, s43
	s_add_i32 s87, s75, s74
	s_mul_i32 s86, s14, s3
	s_add_u32 s74, s12, s86
	s_mul_i32 s76, s59, s3
	s_mul_hi_u32 s77, s58, s3
	s_addc_u32 s75, s13, s87
	s_add_i32 s77, s77, s76
	s_mul_i32 s76, s58, s3
	s_lshl_b64 s[76:77], s[76:77], 3
	s_mul_i32 s80, s63, s3
	s_add_u32 s76, s18, s76
	v_add_u32_e32 v21, s80, v21
	s_addc_u32 s77, s19, s77
	s_and_b64 vcc, exec, s[24:25]
	s_mov_b64 s[78:79], -1
	s_cbranch_vccnz .LBB15_6
; %bb.5:                                ;   in Loop: Header=BB15_4 Depth=1
	s_andn2_b64 vcc, exec, s[78:79]
	s_cbranch_vccnz .LBB15_3
	s_branch .LBB15_103
.LBB15_6:                               ;   in Loop: Header=BB15_4 Depth=1
	s_mul_hi_u32 s78, s62, s3
	s_add_i32 s83, s78, s80
	s_add_u32 s78, s47, s51
	s_addc_u32 s79, s61, s43
	s_add_u32 s80, s44, s86
	s_mul_i32 s82, s62, s3
	s_addc_u32 s81, s45, s87
	s_mov_b64 s[84:85], -1
	s_and_b64 vcc, exec, s[26:27]
	s_cbranch_vccz .LBB15_95
; %bb.7:                                ;   in Loop: Header=BB15_4 Depth=1
	s_and_b64 vcc, exec, s[28:29]
	s_cbranch_vccz .LBB15_87
; %bb.8:                                ;   in Loop: Header=BB15_4 Depth=1
	;; [unrolled: 3-line block ×3, first 2 shown]
	s_and_b64 vcc, exec, s[34:35]
	s_cbranch_vccz .LBB15_71
; %bb.10:                               ;   in Loop: Header=BB15_4 Depth=1
	s_and_b64 vcc, exec, s[36:37]
	s_cbranch_vccz .LBB15_63
; %bb.11:                               ;   in Loop: Header=BB15_4 Depth=1
	v_lshl_add_u64 v[22:23], v[14:15], 0, s[82:83]
	s_and_b64 vcc, exec, s[38:39]
	s_cbranch_vccz .LBB15_55
; %bb.12:                               ;   in Loop: Header=BB15_4 Depth=1
	s_add_u32 s84, s6, s51
	s_addc_u32 s85, s23, s43
	s_add_u32 s86, s49, s86
	v_lshl_add_u64 v[24:25], v[6:7], 0, s[82:83]
	s_addc_u32 s87, s46, s87
	v_lshl_add_u64 v[26:27], v[4:5], 0, s[82:83]
	s_mov_b64 s[88:89], -1
	s_and_b64 vcc, exec, s[40:41]
	s_cbranch_vccz .LBB15_46
; %bb.13:                               ;   in Loop: Header=BB15_4 Depth=1
	v_readlane_b32 s90, v46, 0
	v_readlane_b32 s91, v46, 1
	s_and_b64 vcc, exec, s[90:91]
	s_cbranch_vccz .LBB15_38
; %bb.14:                               ;   in Loop: Header=BB15_4 Depth=1
	v_readlane_b32 s90, v46, 2
	v_readlane_b32 s91, v46, 3
	;; [unrolled: 5-line block ×3, first 2 shown]
	s_and_b64 vcc, exec, s[90:91]
	s_cbranch_vccz .LBB15_22
; %bb.16:                               ;   in Loop: Header=BB15_4 Depth=1
	s_mov_b64 s[88:89], exec
	v_readlane_b32 s90, v46, 6
	v_readlane_b32 s91, v46, 7
	s_and_b64 s[90:91], s[88:89], s[90:91]
	s_mov_b64 exec, s[90:91]
	s_cbranch_execz .LBB15_21
; %bb.17:                               ;   in Loop: Header=BB15_4 Depth=1
	s_lshl_b64 s[90:91], s[70:71], 3
	s_add_u32 s90, s76, s90
	s_addc_u32 s91, s77, s91
	s_mov_b64 s[92:93], 0
	v_mov_b64_e32 v[28:29], v[26:27]
	v_mov_b32_e32 v30, v0
	s_branch .LBB15_19
.LBB15_18:                              ;   in Loop: Header=BB15_19 Depth=2
	v_add_u32_e32 v30, s60, v30
	v_cmp_le_i32_e32 vcc, s7, v30
	s_or_b64 s[92:93], vcc, s[92:93]
	v_lshl_add_u64 v[28:29], v[28:29], 0, s[64:65]
	s_waitcnt vmcnt(0)
	global_store_dwordx2 v[32:33], v[34:35], off
	s_andn2_b64 exec, exec, s[92:93]
	s_cbranch_execz .LBB15_21
.LBB15_19:                              ;   Parent Loop BB15_4 Depth=1
                                        ; =>  This Loop Header: Depth=2
                                        ;       Child Loop BB15_20 Depth 3
	v_ashrrev_i32_e32 v31, 31, v30
	v_lshl_add_u64 v[32:33], v[30:31], 3, s[90:91]
	global_load_dwordx2 v[34:35], v[32:33], off
	s_andn2_b64 vcc, exec, s[52:53]
	v_mov_b64_e32 v[36:37], v[28:29]
	s_mov_b64 s[94:95], s[86:87]
	s_mov_b64 s[96:97], s[84:85]
	s_mov_b32 s43, s2
	s_cbranch_vccnz .LBB15_18
.LBB15_20:                              ;   Parent Loop BB15_4 Depth=1
                                        ;     Parent Loop BB15_19 Depth=2
                                        ; =>    This Inner Loop Header: Depth=3
	global_load_dwordx2 v[38:39], v[36:37], off
	global_load_dword v40, v1, s[96:97]
	global_load_dword v42, v1, s[94:95]
	s_add_i32 s43, s43, -1
	s_add_u32 s96, s96, -4
	s_addc_u32 s97, s97, -1
	s_add_u32 s94, s94, -4
	s_addc_u32 s95, s95, -1
	s_cmp_eq_u32 s43, 0
	s_waitcnt vmcnt(1)
	v_pk_mul_f32 v[44:45], v[40:41], v[38:39] op_sel_hi:[0,1]
	s_waitcnt vmcnt(0)
	v_pk_mul_f32 v[38:39], v[42:43], v[38:39] op_sel_hi:[0,1]
	v_pk_fma_f32 v[42:43], v[34:35], v[42:43], v[44:45] op_sel_hi:[1,0,1]
	v_pk_fma_f32 v[34:35], v[34:35], v[40:41], v[38:39] op_sel_hi:[1,0,1] neg_lo:[0,0,1] neg_hi:[0,0,1]
	global_store_dwordx2 v[36:37], v[42:43], off
	v_lshl_add_u64 v[36:37], v[36:37], 0, s[68:69]
	s_cbranch_scc0 .LBB15_20
	s_branch .LBB15_18
.LBB15_21:                              ;   in Loop: Header=BB15_4 Depth=1
	s_or_b64 exec, exec, s[88:89]
	s_mov_b64 s[88:89], 0
.LBB15_22:                              ;   in Loop: Header=BB15_4 Depth=1
	s_andn2_b64 vcc, exec, s[88:89]
	s_cbranch_vccnz .LBB15_29
; %bb.23:                               ;   in Loop: Header=BB15_4 Depth=1
	s_and_saveexec_b64 s[88:89], s[4:5]
	s_cbranch_execz .LBB15_28
; %bb.24:                               ;   in Loop: Header=BB15_4 Depth=1
	s_lshl_b64 s[90:91], s[70:71], 3
	s_add_u32 s90, s76, s90
	s_addc_u32 s91, s77, s91
	s_mov_b64 s[92:93], 0
	v_mov_b64_e32 v[28:29], v[22:23]
	v_mov_b32_e32 v30, v0
	s_branch .LBB15_26
.LBB15_25:                              ;   in Loop: Header=BB15_26 Depth=2
	v_add_u32_e32 v30, s60, v30
	v_cmp_le_i32_e32 vcc, s7, v30
	s_or_b64 s[92:93], vcc, s[92:93]
	v_lshl_add_u64 v[28:29], v[28:29], 0, s[64:65]
	s_waitcnt vmcnt(0)
	global_store_dwordx2 v[32:33], v[34:35], off
	s_andn2_b64 exec, exec, s[92:93]
	s_cbranch_execz .LBB15_28
.LBB15_26:                              ;   Parent Loop BB15_4 Depth=1
                                        ; =>  This Loop Header: Depth=2
                                        ;       Child Loop BB15_27 Depth 3
	v_ashrrev_i32_e32 v31, 31, v30
	v_lshl_add_u64 v[32:33], v[30:31], 3, s[90:91]
	global_load_dwordx2 v[34:35], v[32:33], off
	s_andn2_b64 vcc, exec, s[52:53]
	v_mov_b64_e32 v[36:37], v[28:29]
	s_mov_b64 s[94:95], s[74:75]
	s_mov_b64 s[96:97], s[16:17]
	s_mov_b32 s43, s2
	s_cbranch_vccnz .LBB15_25
.LBB15_27:                              ;   Parent Loop BB15_4 Depth=1
                                        ;     Parent Loop BB15_26 Depth=2
                                        ; =>    This Inner Loop Header: Depth=3
	global_load_dwordx2 v[38:39], v[36:37], off
	global_load_dword v40, v1, s[96:97]
	global_load_dword v42, v1, s[94:95]
	s_add_i32 s43, s43, -1
	s_add_u32 s96, s96, 4
	s_addc_u32 s97, s97, 0
	s_add_u32 s94, s94, 4
	s_addc_u32 s95, s95, 0
	s_cmp_eq_u32 s43, 0
	s_waitcnt vmcnt(1)
	v_pk_mul_f32 v[44:45], v[40:41], v[38:39] op_sel_hi:[0,1]
	s_waitcnt vmcnt(0)
	v_pk_mul_f32 v[38:39], v[42:43], v[38:39] op_sel_hi:[0,1]
	v_pk_fma_f32 v[42:43], v[34:35], v[42:43], v[44:45] op_sel_hi:[1,0,1]
	v_pk_fma_f32 v[34:35], v[34:35], v[40:41], v[38:39] op_sel_hi:[1,0,1] neg_lo:[0,0,1] neg_hi:[0,0,1]
	global_store_dwordx2 v[36:37], v[42:43], off
	v_lshl_add_u64 v[36:37], v[36:37], 0, s[66:67]
	s_cbranch_scc0 .LBB15_27
	s_branch .LBB15_25
.LBB15_28:                              ;   in Loop: Header=BB15_4 Depth=1
	s_or_b64 exec, exec, s[88:89]
.LBB15_29:                              ;   in Loop: Header=BB15_4 Depth=1
	s_mov_b64 s[88:89], 0
.LBB15_30:                              ;   in Loop: Header=BB15_4 Depth=1
	s_andn2_b64 vcc, exec, s[88:89]
	s_cbranch_vccnz .LBB15_37
; %bb.31:                               ;   in Loop: Header=BB15_4 Depth=1
	s_and_saveexec_b64 s[88:89], s[4:5]
	s_cbranch_execz .LBB15_36
; %bb.32:                               ;   in Loop: Header=BB15_4 Depth=1
	s_mov_b64 s[90:91], 0
	v_mov_b64_e32 v[28:29], v[24:25]
	v_mov_b32_e32 v30, v0
	s_branch .LBB15_34
.LBB15_33:                              ;   in Loop: Header=BB15_34 Depth=2
	v_add_u32_e32 v30, s60, v30
	v_cmp_le_i32_e32 vcc, s7, v30
	s_or_b64 s[90:91], vcc, s[90:91]
	v_lshl_add_u64 v[28:29], v[28:29], 0, s[64:65]
	s_waitcnt vmcnt(0)
	global_store_dwordx2 v[32:33], v[34:35], off
	s_andn2_b64 exec, exec, s[90:91]
	s_cbranch_execz .LBB15_36
.LBB15_34:                              ;   Parent Loop BB15_4 Depth=1
                                        ; =>  This Loop Header: Depth=2
                                        ;       Child Loop BB15_35 Depth 3
	v_ashrrev_i32_e32 v31, 31, v30
	v_lshl_add_u64 v[32:33], v[30:31], 3, s[76:77]
	global_load_dwordx2 v[34:35], v[32:33], off
	s_andn2_b64 vcc, exec, s[52:53]
	v_mov_b64_e32 v[36:37], v[28:29]
	s_mov_b64 s[92:93], s[86:87]
	s_mov_b64 s[94:95], s[84:85]
	s_mov_b32 s43, s21
	s_cbranch_vccnz .LBB15_33
.LBB15_35:                              ;   Parent Loop BB15_4 Depth=1
                                        ;     Parent Loop BB15_34 Depth=2
                                        ; =>    This Inner Loop Header: Depth=3
	global_load_dword v38, v1, s[92:93]
	global_load_dwordx2 v[40:41], v[36:37], off
	global_load_dword v42, v1, s[94:95]
	s_add_i32 s43, s43, -1
	s_add_u32 s94, s94, -4
	s_addc_u32 s95, s95, -1
	s_add_u32 s92, s92, -4
	s_addc_u32 s93, s93, -1
	s_cmp_lt_u32 s43, 3
	s_waitcnt vmcnt(2)
	v_pk_mul_f32 v[44:45], v[34:35], v[38:39] op_sel_hi:[1,0]
	s_waitcnt vmcnt(1)
	v_pk_mul_f32 v[38:39], v[38:39], v[40:41] op_sel_hi:[0,1]
	s_waitcnt vmcnt(0)
	v_pk_fma_f32 v[40:41], v[42:43], v[40:41], v[44:45] op_sel_hi:[0,1,1] neg_lo:[0,0,1] neg_hi:[0,0,1]
	v_pk_fma_f32 v[34:35], v[34:35], v[42:43], v[38:39] op_sel_hi:[1,0,1]
	global_store_dwordx2 v[36:37], v[40:41], off
	v_lshl_add_u64 v[36:37], v[36:37], 0, s[68:69]
	s_cbranch_scc0 .LBB15_35
	s_branch .LBB15_33
.LBB15_36:                              ;   in Loop: Header=BB15_4 Depth=1
	s_or_b64 exec, exec, s[88:89]
.LBB15_37:                              ;   in Loop: Header=BB15_4 Depth=1
	s_mov_b64 s[88:89], 0
.LBB15_38:                              ;   in Loop: Header=BB15_4 Depth=1
	s_andn2_b64 vcc, exec, s[88:89]
	s_cbranch_vccnz .LBB15_45
; %bb.39:                               ;   in Loop: Header=BB15_4 Depth=1
	s_and_saveexec_b64 s[88:89], s[4:5]
	s_cbranch_execz .LBB15_44
; %bb.40:                               ;   in Loop: Header=BB15_4 Depth=1
	v_lshl_add_u64 v[28:29], v[8:9], 0, s[82:83]
	s_mov_b64 s[90:91], 0
	v_mov_b32_e32 v30, v0
	s_branch .LBB15_42
.LBB15_41:                              ;   in Loop: Header=BB15_42 Depth=2
	v_add_u32_e32 v30, s60, v30
	v_cmp_le_i32_e32 vcc, s7, v30
	s_or_b64 s[90:91], vcc, s[90:91]
	v_lshl_add_u64 v[28:29], v[28:29], 0, s[64:65]
	s_waitcnt vmcnt(0)
	global_store_dwordx2 v[32:33], v[34:35], off
	s_andn2_b64 exec, exec, s[90:91]
	s_cbranch_execz .LBB15_44
.LBB15_42:                              ;   Parent Loop BB15_4 Depth=1
                                        ; =>  This Loop Header: Depth=2
                                        ;       Child Loop BB15_43 Depth 3
	v_ashrrev_i32_e32 v31, 31, v30
	v_lshl_add_u64 v[32:33], v[30:31], 3, s[76:77]
	global_load_dwordx2 v[34:35], v[32:33], off
	s_andn2_b64 vcc, exec, s[52:53]
	v_mov_b64_e32 v[36:37], v[28:29]
	s_mov_b32 s43, s2
	s_mov_b64 s[92:93], s[16:17]
	s_mov_b64 s[94:95], s[74:75]
	s_cbranch_vccnz .LBB15_41
.LBB15_43:                              ;   Parent Loop BB15_4 Depth=1
                                        ;     Parent Loop BB15_42 Depth=2
                                        ; =>    This Inner Loop Header: Depth=3
	global_load_dword v38, v1, s[94:95]
	global_load_dwordx2 v[40:41], v[36:37], off
	global_load_dword v42, v1, s[92:93]
	s_add_u32 s94, s94, 4
	s_addc_u32 s95, s95, 0
	s_add_u32 s92, s92, 4
	s_addc_u32 s93, s93, 0
	s_add_i32 s43, s43, -1
	s_cmp_eq_u32 s43, 0
	s_waitcnt vmcnt(2)
	v_pk_mul_f32 v[44:45], v[34:35], v[38:39] op_sel_hi:[1,0]
	s_waitcnt vmcnt(1)
	v_pk_mul_f32 v[38:39], v[38:39], v[40:41] op_sel_hi:[0,1]
	s_waitcnt vmcnt(0)
	v_pk_fma_f32 v[40:41], v[42:43], v[40:41], v[44:45] op_sel_hi:[0,1,1] neg_lo:[0,0,1] neg_hi:[0,0,1]
	v_pk_fma_f32 v[34:35], v[34:35], v[42:43], v[38:39] op_sel_hi:[1,0,1]
	global_store_dwordx2 v[36:37], v[40:41], off
	v_lshl_add_u64 v[36:37], v[36:37], 0, s[66:67]
	s_cbranch_scc0 .LBB15_43
	s_branch .LBB15_41
.LBB15_44:                              ;   in Loop: Header=BB15_4 Depth=1
	s_or_b64 exec, exec, s[88:89]
.LBB15_45:                              ;   in Loop: Header=BB15_4 Depth=1
	s_mov_b64 s[88:89], 0
.LBB15_46:                              ;   in Loop: Header=BB15_4 Depth=1
	s_andn2_b64 vcc, exec, s[88:89]
	s_cbranch_vccnz .LBB15_54
; %bb.47:                               ;   in Loop: Header=BB15_4 Depth=1
	s_and_saveexec_b64 s[88:89], s[4:5]
	s_cbranch_execz .LBB15_53
; %bb.48:                               ;   in Loop: Header=BB15_4 Depth=1
	s_lshl_b64 s[90:91], s[70:71], 3
	s_add_u32 s90, s76, s90
	s_addc_u32 s91, s77, s91
	s_mov_b64 s[92:93], 0
	v_mov_b32_e32 v28, v0
	s_branch .LBB15_50
.LBB15_49:                              ;   in Loop: Header=BB15_50 Depth=2
	v_lshl_add_u64 v[32:33], v[28:29], 3, s[76:77]
	v_add_u32_e32 v28, s60, v28
	v_cmp_le_i32_e32 vcc, s7, v28
	v_lshl_add_u64 v[24:25], v[24:25], 0, s[64:65]
	s_or_b64 s[92:93], vcc, s[92:93]
	v_lshl_add_u64 v[26:27], v[26:27], 0, s[64:65]
	s_waitcnt vmcnt(0)
	global_store_dwordx2 v[32:33], v[30:31], off
	s_andn2_b64 exec, exec, s[92:93]
	s_cbranch_execz .LBB15_53
.LBB15_50:                              ;   Parent Loop BB15_4 Depth=1
                                        ; =>  This Loop Header: Depth=2
                                        ;       Child Loop BB15_52 Depth 3
	v_ashrrev_i32_e32 v29, 31, v28
	v_lshl_add_u64 v[30:31], v[28:29], 3, s[90:91]
	global_load_dwordx2 v[30:31], v[30:31], off
	s_andn2_b64 vcc, exec, s[52:53]
	s_cbranch_vccnz .LBB15_49
; %bb.51:                               ;   in Loop: Header=BB15_50 Depth=2
	s_mov_b64 s[94:95], 0
	s_mov_b64 s[96:97], s[86:87]
	;; [unrolled: 1-line block ×3, first 2 shown]
	s_mov_b32 s43, s2
.LBB15_52:                              ;   Parent Loop BB15_4 Depth=1
                                        ;     Parent Loop BB15_50 Depth=2
                                        ; =>    This Inner Loop Header: Depth=3
	v_lshl_add_u64 v[34:35], v[26:27], 0, s[94:95]
	global_load_dword v32, v1, s[96:97]
	s_nop 0
	global_load_dwordx2 v[34:35], v[34:35], off
	s_nop 0
	global_load_dword v36, v1, s[98:99]
	s_add_i32 s43, s43, -1
	v_lshl_add_u64 v[38:39], v[24:25], 0, s[94:95]
	s_sub_u32 s94, s94, s66
	s_subb_u32 s95, s95, s67
	s_add_u32 s98, s98, -4
	s_addc_u32 s99, s99, -1
	s_add_u32 s96, s96, -4
	s_addc_u32 s97, s97, -1
	s_cmp_eq_u32 s43, 0
	s_waitcnt vmcnt(1)
	v_pk_mul_f32 v[40:41], v[32:33], v[34:35] op_sel_hi:[0,1]
	s_waitcnt vmcnt(0)
	v_pk_mul_f32 v[34:35], v[36:37], v[34:35] op_sel_hi:[0,1]
	v_pk_fma_f32 v[36:37], v[30:31], v[36:37], v[40:41] op_sel_hi:[1,0,1] neg_lo:[0,0,1] neg_hi:[0,0,1]
	v_pk_fma_f32 v[30:31], v[30:31], v[32:33], v[34:35] op_sel_hi:[1,0,1]
	global_store_dwordx2 v[38:39], v[36:37], off
	s_cbranch_scc0 .LBB15_52
	s_branch .LBB15_49
.LBB15_53:                              ;   in Loop: Header=BB15_4 Depth=1
	s_or_b64 exec, exec, s[88:89]
.LBB15_54:                              ;   in Loop: Header=BB15_4 Depth=1
	s_mov_b64 s[84:85], 0
.LBB15_55:                              ;   in Loop: Header=BB15_4 Depth=1
	s_andn2_b64 vcc, exec, s[84:85]
	s_cbranch_vccnz .LBB15_62
; %bb.56:                               ;   in Loop: Header=BB15_4 Depth=1
	s_and_saveexec_b64 s[84:85], s[4:5]
	s_cbranch_execz .LBB15_61
; %bb.57:                               ;   in Loop: Header=BB15_4 Depth=1
	s_lshl_b64 s[86:87], s[70:71], 3
	s_add_u32 s86, s76, s86
	s_addc_u32 s87, s77, s87
	s_mov_b64 s[88:89], 0
	v_mov_b32_e32 v24, v0
	s_branch .LBB15_59
.LBB15_58:                              ;   in Loop: Header=BB15_59 Depth=2
	v_lshl_add_u64 v[28:29], v[24:25], 3, s[86:87]
	v_add_u32_e32 v24, s60, v24
	v_cmp_le_i32_e32 vcc, s7, v24
	s_or_b64 s[88:89], vcc, s[88:89]
	v_lshl_add_u64 v[22:23], v[22:23], 0, s[64:65]
	s_waitcnt vmcnt(0)
	global_store_dwordx2 v[28:29], v[26:27], off
	s_andn2_b64 exec, exec, s[88:89]
	s_cbranch_execz .LBB15_61
.LBB15_59:                              ;   Parent Loop BB15_4 Depth=1
                                        ; =>  This Loop Header: Depth=2
                                        ;       Child Loop BB15_60 Depth 3
	v_ashrrev_i32_e32 v25, 31, v24
	v_lshl_add_u64 v[26:27], v[24:25], 3, s[76:77]
	global_load_dwordx2 v[26:27], v[26:27], off
	s_andn2_b64 vcc, exec, s[52:53]
	s_mov_b64 s[90:91], s[74:75]
	s_mov_b64 s[92:93], s[16:17]
	v_mov_b64_e32 v[28:29], v[22:23]
	s_mov_b32 s43, s2
	s_cbranch_vccnz .LBB15_58
.LBB15_60:                              ;   Parent Loop BB15_4 Depth=1
                                        ;     Parent Loop BB15_59 Depth=2
                                        ; =>    This Inner Loop Header: Depth=3
	global_load_dword v30, v1, s[90:91]
	v_lshl_add_u64 v[32:33], v[28:29], 0, s[66:67]
	global_load_dwordx2 v[34:35], v[32:33], off
	global_load_dword v36, v1, s[92:93]
	s_add_i32 s43, s43, -1
	s_add_u32 s92, s92, 4
	s_addc_u32 s93, s93, 0
	s_add_u32 s90, s90, 4
	s_addc_u32 s91, s91, 0
	s_cmp_eq_u32 s43, 0
	s_waitcnt vmcnt(2)
	v_pk_mul_f32 v[38:39], v[26:27], v[30:31] op_sel_hi:[1,0]
	s_waitcnt vmcnt(1)
	v_pk_mul_f32 v[30:31], v[30:31], v[34:35] op_sel_hi:[0,1]
	s_waitcnt vmcnt(0)
	v_pk_fma_f32 v[30:31], v[26:27], v[36:37], v[30:31] op_sel_hi:[1,0,1]
	v_pk_fma_f32 v[26:27], v[36:37], v[34:35], v[38:39] op_sel_hi:[0,1,1] neg_lo:[0,0,1] neg_hi:[0,0,1]
	global_store_dwordx2 v[28:29], v[30:31], off
	v_mov_b64_e32 v[28:29], v[32:33]
	s_cbranch_scc0 .LBB15_60
	s_branch .LBB15_58
.LBB15_61:                              ;   in Loop: Header=BB15_4 Depth=1
	s_or_b64 exec, exec, s[84:85]
.LBB15_62:                              ;   in Loop: Header=BB15_4 Depth=1
	s_mov_b64 s[84:85], 0
.LBB15_63:                              ;   in Loop: Header=BB15_4 Depth=1
	s_andn2_b64 vcc, exec, s[84:85]
	s_cbranch_vccnz .LBB15_70
; %bb.64:                               ;   in Loop: Header=BB15_4 Depth=1
	s_and_saveexec_b64 s[84:85], s[0:1]
	s_cbranch_execz .LBB15_69
; %bb.65:                               ;   in Loop: Header=BB15_4 Depth=1
	s_lshl_b64 s[86:87], s[54:55], 3
	s_add_u32 s86, s76, s86
	v_lshl_add_u64 v[22:23], v[10:11], 0, s[82:83]
	s_addc_u32 s87, s77, s87
	s_mov_b64 s[88:89], 0
	v_mov_b32_e32 v30, v0
	s_branch .LBB15_67
.LBB15_66:                              ;   in Loop: Header=BB15_67 Depth=2
	v_add_u32_e32 v30, s60, v30
	v_cmp_le_i32_e32 vcc, s48, v30
	s_or_b64 s[88:89], vcc, s[88:89]
	v_lshl_add_u64 v[22:23], v[22:23], 0, s[72:73]
	s_waitcnt vmcnt(0)
	global_store_dwordx2 v[24:25], v[26:27], off offset:-8
	s_andn2_b64 exec, exec, s[88:89]
	s_cbranch_execz .LBB15_69
.LBB15_67:                              ;   Parent Loop BB15_4 Depth=1
                                        ; =>  This Loop Header: Depth=2
                                        ;       Child Loop BB15_68 Depth 3
	v_mad_i64_i32 v[24:25], s[90:91], v30, s20, 0
	v_lshl_add_u64 v[24:25], v[24:25], 3, s[86:87]
	global_load_dwordx2 v[26:27], v[24:25], off offset:-8
	s_andn2_b64 vcc, exec, s[56:57]
	v_mov_b64_e32 v[28:29], v[22:23]
	s_mov_b64 s[90:91], s[80:81]
	s_mov_b64 s[92:93], s[78:79]
	s_mov_b32 s43, s50
	s_cbranch_vccnz .LBB15_66
.LBB15_68:                              ;   Parent Loop BB15_4 Depth=1
                                        ;     Parent Loop BB15_67 Depth=2
                                        ; =>    This Inner Loop Header: Depth=3
	global_load_dwordx2 v[32:33], v[28:29], off
	global_load_dword v34, v1, s[92:93]
	global_load_dword v36, v1, s[90:91]
	s_add_i32 s43, s43, -1
	s_add_u32 s92, s92, -4
	s_addc_u32 s93, s93, -1
	s_add_u32 s90, s90, -4
	s_addc_u32 s91, s91, -1
	s_cmp_eq_u32 s43, 0
	s_waitcnt vmcnt(1)
	v_pk_mul_f32 v[38:39], v[34:35], v[32:33] op_sel_hi:[0,1]
	s_waitcnt vmcnt(0)
	v_pk_mul_f32 v[32:33], v[36:37], v[32:33] op_sel_hi:[0,1]
	v_pk_fma_f32 v[36:37], v[26:27], v[36:37], v[38:39] op_sel_hi:[1,0,1]
	v_pk_fma_f32 v[26:27], v[26:27], v[34:35], v[32:33] op_sel_hi:[1,0,1] neg_lo:[0,0,1] neg_hi:[0,0,1]
	global_store_dwordx2 v[28:29], v[36:37], off
	v_lshl_add_u64 v[28:29], v[28:29], 0, -8
	s_cbranch_scc0 .LBB15_68
	s_branch .LBB15_66
.LBB15_69:                              ;   in Loop: Header=BB15_4 Depth=1
	s_or_b64 exec, exec, s[84:85]
.LBB15_70:                              ;   in Loop: Header=BB15_4 Depth=1
	s_mov_b64 s[84:85], 0
.LBB15_71:                              ;   in Loop: Header=BB15_4 Depth=1
	s_andn2_b64 vcc, exec, s[84:85]
	s_cbranch_vccnz .LBB15_78
; %bb.72:                               ;   in Loop: Header=BB15_4 Depth=1
	s_and_saveexec_b64 s[84:85], s[0:1]
	s_cbranch_execz .LBB15_77
; %bb.73:                               ;   in Loop: Header=BB15_4 Depth=1
	s_lshl_b64 s[86:87], s[54:55], 3
	s_add_u32 s86, s76, s86
	v_lshl_add_u64 v[22:23], v[2:3], 0, s[82:83]
	s_addc_u32 s87, s77, s87
	s_mov_b64 s[88:89], 0
	v_mov_b32_e32 v30, v0
	s_branch .LBB15_75
.LBB15_74:                              ;   in Loop: Header=BB15_75 Depth=2
	v_add_u32_e32 v30, s60, v30
	v_cmp_le_i32_e32 vcc, s48, v30
	s_or_b64 s[88:89], vcc, s[88:89]
	v_lshl_add_u64 v[22:23], v[22:23], 0, s[72:73]
	s_waitcnt vmcnt(0)
	global_store_dwordx2 v[24:25], v[26:27], off offset:-8
	s_andn2_b64 exec, exec, s[88:89]
	s_cbranch_execz .LBB15_77
.LBB15_75:                              ;   Parent Loop BB15_4 Depth=1
                                        ; =>  This Loop Header: Depth=2
                                        ;       Child Loop BB15_76 Depth 3
	v_mad_i64_i32 v[24:25], s[90:91], v30, s20, 0
	v_lshl_add_u64 v[24:25], v[24:25], 3, s[86:87]
	global_load_dwordx2 v[26:27], v[24:25], off offset:-8
	s_andn2_b64 vcc, exec, s[56:57]
	v_mov_b64_e32 v[28:29], v[22:23]
	s_mov_b64 s[90:91], s[74:75]
	s_mov_b64 s[92:93], s[16:17]
	s_mov_b32 s43, s50
	s_cbranch_vccnz .LBB15_74
.LBB15_76:                              ;   Parent Loop BB15_4 Depth=1
                                        ;     Parent Loop BB15_75 Depth=2
                                        ; =>    This Inner Loop Header: Depth=3
	global_load_dwordx2 v[32:33], v[28:29], off
	global_load_dword v34, v1, s[92:93]
	global_load_dword v36, v1, s[90:91]
	s_add_i32 s43, s43, -1
	s_add_u32 s92, s92, 4
	s_addc_u32 s93, s93, 0
	s_add_u32 s90, s90, 4
	s_addc_u32 s91, s91, 0
	s_cmp_eq_u32 s43, 0
	s_waitcnt vmcnt(1)
	v_pk_mul_f32 v[38:39], v[34:35], v[32:33] op_sel_hi:[0,1]
	s_waitcnt vmcnt(0)
	v_pk_mul_f32 v[32:33], v[36:37], v[32:33] op_sel_hi:[0,1]
	v_pk_fma_f32 v[36:37], v[26:27], v[36:37], v[38:39] op_sel_hi:[1,0,1]
	v_pk_fma_f32 v[26:27], v[26:27], v[34:35], v[32:33] op_sel_hi:[1,0,1] neg_lo:[0,0,1] neg_hi:[0,0,1]
	global_store_dwordx2 v[28:29], v[36:37], off
	v_lshl_add_u64 v[28:29], v[28:29], 0, 8
	s_cbranch_scc0 .LBB15_76
	s_branch .LBB15_74
.LBB15_77:                              ;   in Loop: Header=BB15_4 Depth=1
	s_or_b64 exec, exec, s[84:85]
.LBB15_78:                              ;   in Loop: Header=BB15_4 Depth=1
	s_mov_b64 s[84:85], 0
.LBB15_79:                              ;   in Loop: Header=BB15_4 Depth=1
	s_andn2_b64 vcc, exec, s[84:85]
	s_cbranch_vccnz .LBB15_86
; %bb.80:                               ;   in Loop: Header=BB15_4 Depth=1
	s_and_saveexec_b64 s[84:85], s[0:1]
	s_cbranch_execz .LBB15_85
; %bb.81:                               ;   in Loop: Header=BB15_4 Depth=1
	v_lshl_add_u64 v[22:23], v[12:13], 0, s[82:83]
	s_mov_b64 s[86:87], 0
	v_mov_b32_e32 v30, v0
	s_branch .LBB15_83
.LBB15_82:                              ;   in Loop: Header=BB15_83 Depth=2
	v_add_u32_e32 v30, s60, v30
	v_cmp_le_i32_e32 vcc, s48, v30
	s_or_b64 s[86:87], vcc, s[86:87]
	v_lshl_add_u64 v[22:23], v[22:23], 0, s[72:73]
	s_waitcnt vmcnt(0)
	global_store_dwordx2 v[24:25], v[26:27], off
	s_andn2_b64 exec, exec, s[86:87]
	s_cbranch_execz .LBB15_85
.LBB15_83:                              ;   Parent Loop BB15_4 Depth=1
                                        ; =>  This Loop Header: Depth=2
                                        ;       Child Loop BB15_84 Depth 3
	v_mad_i64_i32 v[24:25], s[88:89], v30, s20, 0
	v_lshl_add_u64 v[24:25], v[24:25], 3, s[76:77]
	global_load_dwordx2 v[26:27], v[24:25], off
	s_andn2_b64 vcc, exec, s[56:57]
	v_mov_b64_e32 v[28:29], v[22:23]
	s_mov_b64 s[88:89], s[80:81]
	s_mov_b64 s[90:91], s[78:79]
	s_mov_b32 s43, s42
	s_cbranch_vccnz .LBB15_82
.LBB15_84:                              ;   Parent Loop BB15_4 Depth=1
                                        ;     Parent Loop BB15_83 Depth=2
                                        ; =>    This Inner Loop Header: Depth=3
	global_load_dword v32, v1, s[88:89]
	global_load_dwordx2 v[34:35], v[28:29], off
	global_load_dword v36, v1, s[90:91]
	s_add_i32 s43, s43, -1
	s_add_u32 s90, s90, -4
	s_addc_u32 s91, s91, -1
	s_add_u32 s88, s88, -4
	s_addc_u32 s89, s89, -1
	s_cmp_lt_u32 s43, 3
	s_waitcnt vmcnt(2)
	v_pk_mul_f32 v[38:39], v[26:27], v[32:33] op_sel_hi:[1,0]
	s_waitcnt vmcnt(1)
	v_pk_mul_f32 v[32:33], v[32:33], v[34:35] op_sel_hi:[0,1]
	s_waitcnt vmcnt(0)
	v_pk_fma_f32 v[34:35], v[36:37], v[34:35], v[38:39] op_sel_hi:[0,1,1] neg_lo:[0,0,1] neg_hi:[0,0,1]
	v_pk_fma_f32 v[26:27], v[26:27], v[36:37], v[32:33] op_sel_hi:[1,0,1]
	global_store_dwordx2 v[28:29], v[34:35], off
	v_lshl_add_u64 v[28:29], v[28:29], 0, -8
	s_cbranch_scc0 .LBB15_84
	s_branch .LBB15_82
.LBB15_85:                              ;   in Loop: Header=BB15_4 Depth=1
	s_or_b64 exec, exec, s[84:85]
.LBB15_86:                              ;   in Loop: Header=BB15_4 Depth=1
	s_mov_b64 s[84:85], 0
.LBB15_87:                              ;   in Loop: Header=BB15_4 Depth=1
	s_andn2_b64 vcc, exec, s[84:85]
	s_cbranch_vccnz .LBB15_94
; %bb.88:                               ;   in Loop: Header=BB15_4 Depth=1
	s_and_saveexec_b64 s[84:85], s[0:1]
	s_cbranch_execz .LBB15_93
; %bb.89:                               ;   in Loop: Header=BB15_4 Depth=1
	s_mov_b64 s[86:87], 0
	v_mov_b64_e32 v[22:23], v[20:21]
	v_mov_b32_e32 v30, v0
	s_branch .LBB15_91
.LBB15_90:                              ;   in Loop: Header=BB15_91 Depth=2
	v_add_u32_e32 v30, s60, v30
	v_cmp_le_i32_e32 vcc, s48, v30
	s_or_b64 s[86:87], vcc, s[86:87]
	v_lshl_add_u64 v[22:23], v[22:23], 0, s[72:73]
	s_waitcnt vmcnt(0)
	global_store_dwordx2 v[24:25], v[26:27], off
	s_andn2_b64 exec, exec, s[86:87]
	s_cbranch_execz .LBB15_93
.LBB15_91:                              ;   Parent Loop BB15_4 Depth=1
                                        ; =>  This Loop Header: Depth=2
                                        ;       Child Loop BB15_92 Depth 3
	v_mad_i64_i32 v[24:25], s[88:89], v30, s20, 0
	v_lshl_add_u64 v[24:25], v[24:25], 3, s[76:77]
	global_load_dwordx2 v[26:27], v[24:25], off
	s_andn2_b64 vcc, exec, s[56:57]
	v_mov_b64_e32 v[28:29], v[22:23]
	s_mov_b32 s43, s50
	s_mov_b64 s[88:89], s[16:17]
	s_mov_b64 s[90:91], s[74:75]
	s_cbranch_vccnz .LBB15_90
.LBB15_92:                              ;   Parent Loop BB15_4 Depth=1
                                        ;     Parent Loop BB15_91 Depth=2
                                        ; =>    This Inner Loop Header: Depth=3
	global_load_dword v32, v1, s[90:91]
	global_load_dwordx2 v[34:35], v[28:29], off
	global_load_dword v36, v1, s[88:89]
	s_add_u32 s90, s90, 4
	s_addc_u32 s91, s91, 0
	s_add_u32 s88, s88, 4
	s_addc_u32 s89, s89, 0
	s_add_i32 s43, s43, -1
	s_cmp_eq_u32 s43, 0
	s_waitcnt vmcnt(2)
	v_pk_mul_f32 v[38:39], v[26:27], v[32:33] op_sel_hi:[1,0]
	s_waitcnt vmcnt(1)
	v_pk_mul_f32 v[32:33], v[32:33], v[34:35] op_sel_hi:[0,1]
	s_waitcnt vmcnt(0)
	v_pk_fma_f32 v[34:35], v[36:37], v[34:35], v[38:39] op_sel_hi:[0,1,1] neg_lo:[0,0,1] neg_hi:[0,0,1]
	v_pk_fma_f32 v[26:27], v[26:27], v[36:37], v[32:33] op_sel_hi:[1,0,1]
	global_store_dwordx2 v[28:29], v[34:35], off
	v_lshl_add_u64 v[28:29], v[28:29], 0, 8
	s_cbranch_scc0 .LBB15_92
	s_branch .LBB15_90
.LBB15_93:                              ;   in Loop: Header=BB15_4 Depth=1
	s_or_b64 exec, exec, s[84:85]
.LBB15_94:                              ;   in Loop: Header=BB15_4 Depth=1
	s_mov_b64 s[84:85], 0
.LBB15_95:                              ;   in Loop: Header=BB15_4 Depth=1
	s_andn2_b64 vcc, exec, s[84:85]
	s_cbranch_vccnz .LBB15_102
; %bb.96:                               ;   in Loop: Header=BB15_4 Depth=1
	s_and_saveexec_b64 s[84:85], s[0:1]
	s_cbranch_execz .LBB15_101
; %bb.97:                               ;   in Loop: Header=BB15_4 Depth=1
	v_lshl_add_u64 v[22:23], v[18:19], 0, s[82:83]
	s_lshl_b64 s[82:83], s[54:55], 3
	s_add_u32 s82, s76, s82
	s_addc_u32 s83, s77, s83
	s_mov_b64 s[86:87], 0
	v_mov_b32_e32 v30, v0
	s_branch .LBB15_99
.LBB15_98:                              ;   in Loop: Header=BB15_99 Depth=2
	v_add_u32_e32 v30, s60, v30
	v_cmp_le_i32_e32 vcc, s48, v30
	v_lshl_add_u64 v[24:25], v[24:25], 3, s[76:77]
	s_or_b64 s[86:87], vcc, s[86:87]
	v_lshl_add_u64 v[22:23], v[22:23], 0, s[72:73]
	s_waitcnt vmcnt(0)
	global_store_dwordx2 v[24:25], v[26:27], off
	s_andn2_b64 exec, exec, s[86:87]
	s_cbranch_execz .LBB15_101
.LBB15_99:                              ;   Parent Loop BB15_4 Depth=1
                                        ; =>  This Loop Header: Depth=2
                                        ;       Child Loop BB15_100 Depth 3
	v_mad_i64_i32 v[24:25], s[88:89], v30, s20, 0
	v_lshl_add_u64 v[26:27], v[24:25], 3, s[82:83]
	global_load_dwordx2 v[26:27], v[26:27], off offset:-8
	s_andn2_b64 vcc, exec, s[56:57]
	v_mov_b64_e32 v[28:29], v[22:23]
	s_mov_b64 s[88:89], s[80:81]
	s_mov_b64 s[90:91], s[78:79]
	s_mov_b32 s43, s50
	s_cbranch_vccnz .LBB15_98
.LBB15_100:                             ;   Parent Loop BB15_4 Depth=1
                                        ;     Parent Loop BB15_99 Depth=2
                                        ; =>    This Inner Loop Header: Depth=3
	global_load_dwordx2 v[32:33], v[28:29], off offset:-8
	global_load_dword v34, v1, s[88:89]
	global_load_dword v36, v1, s[90:91]
	s_add_i32 s43, s43, -1
	s_add_u32 s90, s90, -4
	s_addc_u32 s91, s91, -1
	s_add_u32 s88, s88, -4
	v_lshl_add_u64 v[38:39], v[28:29], 0, -8
	s_addc_u32 s89, s89, -1
	s_cmp_eq_u32 s43, 0
	s_waitcnt vmcnt(1)
	v_pk_mul_f32 v[40:41], v[34:35], v[32:33] op_sel_hi:[0,1]
	s_waitcnt vmcnt(0)
	v_pk_mul_f32 v[32:33], v[36:37], v[32:33] op_sel_hi:[0,1]
	v_pk_fma_f32 v[36:37], v[26:27], v[36:37], v[40:41] op_sel_hi:[1,0,1] neg_lo:[0,0,1] neg_hi:[0,0,1]
	v_pk_fma_f32 v[26:27], v[26:27], v[34:35], v[32:33] op_sel_hi:[1,0,1]
	global_store_dwordx2 v[28:29], v[36:37], off
	v_mov_b64_e32 v[28:29], v[38:39]
	s_cbranch_scc0 .LBB15_100
	s_branch .LBB15_98
.LBB15_101:                             ;   in Loop: Header=BB15_4 Depth=1
	s_or_b64 exec, exec, s[84:85]
.LBB15_102:                             ;   in Loop: Header=BB15_4 Depth=1
	s_cbranch_execnz .LBB15_3
.LBB15_103:                             ;   in Loop: Header=BB15_4 Depth=1
	s_and_saveexec_b64 s[78:79], s[0:1]
	s_cbranch_execz .LBB15_2
; %bb.104:                              ;   in Loop: Header=BB15_4 Depth=1
	s_lshl_b64 s[80:81], s[54:55], 3
	s_add_u32 s80, s76, s80
	s_addc_u32 s81, s77, s81
	s_mov_b64 s[82:83], 0
	v_mov_b32_e32 v28, v0
	s_branch .LBB15_106
.LBB15_105:                             ;   in Loop: Header=BB15_106 Depth=2
	v_add_u32_e32 v28, s60, v28
	v_cmp_le_i32_e32 vcc, s48, v28
	v_lshl_add_u64 v[22:23], v[22:23], 3, s[80:81]
	s_or_b64 s[82:83], vcc, s[82:83]
	v_lshl_add_u64 v[20:21], v[20:21], 0, s[72:73]
	s_waitcnt vmcnt(0)
	global_store_dwordx2 v[22:23], v[24:25], off offset:-8
	s_andn2_b64 exec, exec, s[82:83]
	s_cbranch_execz .LBB15_2
.LBB15_106:                             ;   Parent Loop BB15_4 Depth=1
                                        ; =>  This Loop Header: Depth=2
                                        ;       Child Loop BB15_107 Depth 3
	v_mad_i64_i32 v[22:23], s[84:85], v28, s20, 0
	v_lshl_add_u64 v[24:25], v[22:23], 3, s[76:77]
	global_load_dwordx2 v[24:25], v[24:25], off
	s_andn2_b64 vcc, exec, s[56:57]
	s_mov_b64 s[84:85], s[74:75]
	s_mov_b64 s[86:87], s[16:17]
	v_mov_b64_e32 v[26:27], v[20:21]
	s_mov_b32 s43, s50
	s_cbranch_vccnz .LBB15_105
.LBB15_107:                             ;   Parent Loop BB15_4 Depth=1
                                        ;     Parent Loop BB15_106 Depth=2
                                        ; =>    This Inner Loop Header: Depth=3
	global_load_dwordx2 v[30:31], v[26:27], off
	global_load_dword v32, v1, s[84:85]
	global_load_dword v34, v1, s[86:87]
	s_add_i32 s43, s43, -1
	s_add_u32 s86, s86, 4
	s_addc_u32 s87, s87, 0
	s_add_u32 s84, s84, 4
	s_addc_u32 s85, s85, 0
	s_cmp_eq_u32 s43, 0
	s_waitcnt vmcnt(1)
	v_pk_mul_f32 v[36:37], v[32:33], v[30:31] op_sel_hi:[0,1]
	v_pk_mul_f32 v[32:33], v[24:25], v[32:33] op_sel_hi:[1,0]
	s_waitcnt vmcnt(0)
	v_pk_fma_f32 v[36:37], v[24:25], v[34:35], v[36:37] op_sel_hi:[1,0,1]
	v_pk_fma_f32 v[24:25], v[34:35], v[30:31], v[32:33] op_sel_hi:[0,1,1] neg_lo:[0,0,1] neg_hi:[0,0,1]
	global_store_dwordx2 v[26:27], v[36:37], off offset:-8
	v_lshl_add_u64 v[26:27], v[26:27], 0, 8
	s_cbranch_scc0 .LBB15_107
	s_branch .LBB15_105
.LBB15_108:
	s_endpgm
	.section	.rodata,"a",@progbits
	.p2align	6, 0x0
	.amdhsa_kernel _ZN9rocsolver6v33100L11lasr_kernelI19rocblas_complex_numIfEfPS3_iEEv13rocblas_side_14rocblas_pivot_15rocblas_direct_T2_S8_PT0_lSA_lT1_lS8_lS8_
		.amdhsa_group_segment_fixed_size 0
		.amdhsa_private_segment_fixed_size 0
		.amdhsa_kernarg_size 352
		.amdhsa_user_sgpr_count 2
		.amdhsa_user_sgpr_dispatch_ptr 0
		.amdhsa_user_sgpr_queue_ptr 0
		.amdhsa_user_sgpr_kernarg_segment_ptr 1
		.amdhsa_user_sgpr_dispatch_id 0
		.amdhsa_user_sgpr_kernarg_preload_length 0
		.amdhsa_user_sgpr_kernarg_preload_offset 0
		.amdhsa_user_sgpr_private_segment_size 0
		.amdhsa_uses_dynamic_stack 0
		.amdhsa_enable_private_segment 0
		.amdhsa_system_sgpr_workgroup_id_x 1
		.amdhsa_system_sgpr_workgroup_id_y 0
		.amdhsa_system_sgpr_workgroup_id_z 1
		.amdhsa_system_sgpr_workgroup_info 0
		.amdhsa_system_vgpr_workitem_id 0
		.amdhsa_next_free_vgpr 47
		.amdhsa_next_free_sgpr 100
		.amdhsa_accum_offset 48
		.amdhsa_reserve_vcc 1
		.amdhsa_float_round_mode_32 0
		.amdhsa_float_round_mode_16_64 0
		.amdhsa_float_denorm_mode_32 3
		.amdhsa_float_denorm_mode_16_64 3
		.amdhsa_dx10_clamp 1
		.amdhsa_ieee_mode 1
		.amdhsa_fp16_overflow 0
		.amdhsa_tg_split 0
		.amdhsa_exception_fp_ieee_invalid_op 0
		.amdhsa_exception_fp_denorm_src 0
		.amdhsa_exception_fp_ieee_div_zero 0
		.amdhsa_exception_fp_ieee_overflow 0
		.amdhsa_exception_fp_ieee_underflow 0
		.amdhsa_exception_fp_ieee_inexact 0
		.amdhsa_exception_int_div_zero 0
	.end_amdhsa_kernel
	.section	.text._ZN9rocsolver6v33100L11lasr_kernelI19rocblas_complex_numIfEfPS3_iEEv13rocblas_side_14rocblas_pivot_15rocblas_direct_T2_S8_PT0_lSA_lT1_lS8_lS8_,"axG",@progbits,_ZN9rocsolver6v33100L11lasr_kernelI19rocblas_complex_numIfEfPS3_iEEv13rocblas_side_14rocblas_pivot_15rocblas_direct_T2_S8_PT0_lSA_lT1_lS8_lS8_,comdat
.Lfunc_end15:
	.size	_ZN9rocsolver6v33100L11lasr_kernelI19rocblas_complex_numIfEfPS3_iEEv13rocblas_side_14rocblas_pivot_15rocblas_direct_T2_S8_PT0_lSA_lT1_lS8_lS8_, .Lfunc_end15-_ZN9rocsolver6v33100L11lasr_kernelI19rocblas_complex_numIfEfPS3_iEEv13rocblas_side_14rocblas_pivot_15rocblas_direct_T2_S8_PT0_lSA_lT1_lS8_lS8_
                                        ; -- End function
	.set _ZN9rocsolver6v33100L11lasr_kernelI19rocblas_complex_numIfEfPS3_iEEv13rocblas_side_14rocblas_pivot_15rocblas_direct_T2_S8_PT0_lSA_lT1_lS8_lS8_.num_vgpr, 47
	.set _ZN9rocsolver6v33100L11lasr_kernelI19rocblas_complex_numIfEfPS3_iEEv13rocblas_side_14rocblas_pivot_15rocblas_direct_T2_S8_PT0_lSA_lT1_lS8_lS8_.num_agpr, 0
	.set _ZN9rocsolver6v33100L11lasr_kernelI19rocblas_complex_numIfEfPS3_iEEv13rocblas_side_14rocblas_pivot_15rocblas_direct_T2_S8_PT0_lSA_lT1_lS8_lS8_.numbered_sgpr, 100
	.set _ZN9rocsolver6v33100L11lasr_kernelI19rocblas_complex_numIfEfPS3_iEEv13rocblas_side_14rocblas_pivot_15rocblas_direct_T2_S8_PT0_lSA_lT1_lS8_lS8_.num_named_barrier, 0
	.set _ZN9rocsolver6v33100L11lasr_kernelI19rocblas_complex_numIfEfPS3_iEEv13rocblas_side_14rocblas_pivot_15rocblas_direct_T2_S8_PT0_lSA_lT1_lS8_lS8_.private_seg_size, 0
	.set _ZN9rocsolver6v33100L11lasr_kernelI19rocblas_complex_numIfEfPS3_iEEv13rocblas_side_14rocblas_pivot_15rocblas_direct_T2_S8_PT0_lSA_lT1_lS8_lS8_.uses_vcc, 1
	.set _ZN9rocsolver6v33100L11lasr_kernelI19rocblas_complex_numIfEfPS3_iEEv13rocblas_side_14rocblas_pivot_15rocblas_direct_T2_S8_PT0_lSA_lT1_lS8_lS8_.uses_flat_scratch, 0
	.set _ZN9rocsolver6v33100L11lasr_kernelI19rocblas_complex_numIfEfPS3_iEEv13rocblas_side_14rocblas_pivot_15rocblas_direct_T2_S8_PT0_lSA_lT1_lS8_lS8_.has_dyn_sized_stack, 0
	.set _ZN9rocsolver6v33100L11lasr_kernelI19rocblas_complex_numIfEfPS3_iEEv13rocblas_side_14rocblas_pivot_15rocblas_direct_T2_S8_PT0_lSA_lT1_lS8_lS8_.has_recursion, 0
	.set _ZN9rocsolver6v33100L11lasr_kernelI19rocblas_complex_numIfEfPS3_iEEv13rocblas_side_14rocblas_pivot_15rocblas_direct_T2_S8_PT0_lSA_lT1_lS8_lS8_.has_indirect_call, 0
	.section	.AMDGPU.csdata,"",@progbits
; Kernel info:
; codeLenInByte = 4148
; TotalNumSgprs: 106
; NumVgprs: 47
; NumAgprs: 0
; TotalNumVgprs: 47
; ScratchSize: 0
; MemoryBound: 0
; FloatMode: 240
; IeeeMode: 1
; LDSByteSize: 0 bytes/workgroup (compile time only)
; SGPRBlocks: 13
; VGPRBlocks: 5
; NumSGPRsForWavesPerEU: 106
; NumVGPRsForWavesPerEU: 47
; AccumOffset: 48
; Occupancy: 7
; WaveLimiterHint : 0
; COMPUTE_PGM_RSRC2:SCRATCH_EN: 0
; COMPUTE_PGM_RSRC2:USER_SGPR: 2
; COMPUTE_PGM_RSRC2:TRAP_HANDLER: 0
; COMPUTE_PGM_RSRC2:TGID_X_EN: 1
; COMPUTE_PGM_RSRC2:TGID_Y_EN: 0
; COMPUTE_PGM_RSRC2:TGID_Z_EN: 1
; COMPUTE_PGM_RSRC2:TIDIG_COMP_CNT: 0
; COMPUTE_PGM_RSRC3_GFX90A:ACCUM_OFFSET: 11
; COMPUTE_PGM_RSRC3_GFX90A:TG_SPLIT: 0
	.section	.text._ZN9rocsolver6v33100L11swap_kernelI19rocblas_complex_numIfEiEEvT0_PT_S4_S6_S4_,"axG",@progbits,_ZN9rocsolver6v33100L11swap_kernelI19rocblas_complex_numIfEiEEvT0_PT_S4_S6_S4_,comdat
	.globl	_ZN9rocsolver6v33100L11swap_kernelI19rocblas_complex_numIfEiEEvT0_PT_S4_S6_S4_ ; -- Begin function _ZN9rocsolver6v33100L11swap_kernelI19rocblas_complex_numIfEiEEvT0_PT_S4_S6_S4_
	.p2align	8
	.type	_ZN9rocsolver6v33100L11swap_kernelI19rocblas_complex_numIfEiEEvT0_PT_S4_S6_S4_,@function
_ZN9rocsolver6v33100L11swap_kernelI19rocblas_complex_numIfEiEEvT0_PT_S4_S6_S4_: ; @_ZN9rocsolver6v33100L11swap_kernelI19rocblas_complex_numIfEiEEvT0_PT_S4_S6_S4_
; %bb.0:
	s_load_dword s16, s[0:1], 0x0
	s_waitcnt lgkmcnt(0)
	s_cmp_lt_i32 s16, 1
	s_cbranch_scc1 .LBB16_10
; %bb.1:
	s_load_dword s8, s[0:1], 0x28
	s_load_dword s9, s[0:1], 0x34
	s_load_dwordx2 s[4:5], s[0:1], 0x8
	s_load_dword s3, s[0:1], 0x10
	s_load_dwordx2 s[6:7], s[0:1], 0x18
	s_load_dword s10, s[0:1], 0x20
	s_waitcnt lgkmcnt(0)
	s_and_b32 s0, s9, 0xffff
	s_mul_i32 s2, s2, s0
	s_cmp_eq_u32 s3, 1
	v_add_u32_e32 v0, s2, v0
	s_mul_i32 s2, s8, s0
	s_cselect_b64 s[0:1], -1, 0
	s_cmp_eq_u32 s10, 1
	s_cselect_b64 s[8:9], -1, 0
	s_and_b64 s[12:13], s[0:1], s[8:9]
	v_cmp_gt_i32_e64 s[0:1], s16, v0
	s_mov_b64 s[8:9], -1
	s_and_b64 vcc, exec, s[12:13]
	s_cbranch_vccnz .LBB16_6
; %bb.2:
	s_and_saveexec_b64 s[8:9], s[0:1]
	s_cbranch_execz .LBB16_5
; %bb.3:
	v_mad_i64_i32 v[2:3], s[12:13], s10, v0, 0
	v_mad_i64_i32 v[4:5], s[12:13], s3, v0, 0
	s_mul_hi_i32 s11, s10, s2
	s_mul_i32 s10, s10, s2
	s_mul_hi_i32 s13, s3, s2
	s_mul_i32 s12, s3, s2
	v_lshl_add_u64 v[2:3], v[2:3], 3, s[6:7]
	s_lshl_b64 s[10:11], s[10:11], 3
	v_lshl_add_u64 v[4:5], v[4:5], 3, s[4:5]
	s_lshl_b64 s[12:13], s[12:13], 3
	s_mov_b64 s[14:15], 0
	v_mov_b32_e32 v1, v0
.LBB16_4:                               ; =>This Inner Loop Header: Depth=1
	global_load_dwordx2 v[6:7], v[4:5], off
	global_load_dwordx2 v[8:9], v[2:3], off
	v_add_u32_e32 v1, s2, v1
	v_cmp_le_i32_e32 vcc, s16, v1
	s_or_b64 s[14:15], vcc, s[14:15]
	s_waitcnt vmcnt(1)
	global_store_dwordx2 v[2:3], v[6:7], off
	s_waitcnt vmcnt(1)
	global_store_dwordx2 v[4:5], v[8:9], off
	v_lshl_add_u64 v[2:3], v[2:3], 0, s[10:11]
	v_lshl_add_u64 v[4:5], v[4:5], 0, s[12:13]
	s_andn2_b64 exec, exec, s[14:15]
	s_cbranch_execnz .LBB16_4
.LBB16_5:
	s_or_b64 exec, exec, s[8:9]
	s_mov_b64 s[8:9], 0
.LBB16_6:
	s_andn2_b64 vcc, exec, s[8:9]
	s_cbranch_vccnz .LBB16_10
; %bb.7:
	s_and_saveexec_b64 s[8:9], s[0:1]
	s_cbranch_execz .LBB16_10
; %bb.8:
	v_ashrrev_i32_e32 v1, 31, v0
	s_ashr_i32 s3, s2, 31
	v_lshlrev_b64 v[2:3], 3, v[0:1]
	s_lshl_b64 s[0:1], s[2:3], 3
	s_mov_b64 s[8:9], 0
.LBB16_9:                               ; =>This Inner Loop Header: Depth=1
	v_lshl_add_u64 v[6:7], s[4:5], 0, v[2:3]
	v_lshl_add_u64 v[4:5], s[6:7], 0, v[2:3]
	global_load_dwordx2 v[8:9], v[6:7], off
	global_load_dwordx2 v[10:11], v[4:5], off
	v_add_u32_e32 v0, s2, v0
	v_cmp_le_i32_e32 vcc, s16, v0
	v_lshl_add_u64 v[2:3], v[2:3], 0, s[0:1]
	s_or_b64 s[8:9], vcc, s[8:9]
	s_waitcnt vmcnt(1)
	global_store_dwordx2 v[4:5], v[8:9], off
	s_waitcnt vmcnt(1)
	global_store_dwordx2 v[6:7], v[10:11], off
	s_andn2_b64 exec, exec, s[8:9]
	s_cbranch_execnz .LBB16_9
.LBB16_10:
	s_endpgm
	.section	.rodata,"a",@progbits
	.p2align	6, 0x0
	.amdhsa_kernel _ZN9rocsolver6v33100L11swap_kernelI19rocblas_complex_numIfEiEEvT0_PT_S4_S6_S4_
		.amdhsa_group_segment_fixed_size 0
		.amdhsa_private_segment_fixed_size 0
		.amdhsa_kernarg_size 296
		.amdhsa_user_sgpr_count 2
		.amdhsa_user_sgpr_dispatch_ptr 0
		.amdhsa_user_sgpr_queue_ptr 0
		.amdhsa_user_sgpr_kernarg_segment_ptr 1
		.amdhsa_user_sgpr_dispatch_id 0
		.amdhsa_user_sgpr_kernarg_preload_length 0
		.amdhsa_user_sgpr_kernarg_preload_offset 0
		.amdhsa_user_sgpr_private_segment_size 0
		.amdhsa_uses_dynamic_stack 0
		.amdhsa_enable_private_segment 0
		.amdhsa_system_sgpr_workgroup_id_x 1
		.amdhsa_system_sgpr_workgroup_id_y 0
		.amdhsa_system_sgpr_workgroup_id_z 0
		.amdhsa_system_sgpr_workgroup_info 0
		.amdhsa_system_vgpr_workitem_id 0
		.amdhsa_next_free_vgpr 12
		.amdhsa_next_free_sgpr 17
		.amdhsa_accum_offset 12
		.amdhsa_reserve_vcc 1
		.amdhsa_float_round_mode_32 0
		.amdhsa_float_round_mode_16_64 0
		.amdhsa_float_denorm_mode_32 3
		.amdhsa_float_denorm_mode_16_64 3
		.amdhsa_dx10_clamp 1
		.amdhsa_ieee_mode 1
		.amdhsa_fp16_overflow 0
		.amdhsa_tg_split 0
		.amdhsa_exception_fp_ieee_invalid_op 0
		.amdhsa_exception_fp_denorm_src 0
		.amdhsa_exception_fp_ieee_div_zero 0
		.amdhsa_exception_fp_ieee_overflow 0
		.amdhsa_exception_fp_ieee_underflow 0
		.amdhsa_exception_fp_ieee_inexact 0
		.amdhsa_exception_int_div_zero 0
	.end_amdhsa_kernel
	.section	.text._ZN9rocsolver6v33100L11swap_kernelI19rocblas_complex_numIfEiEEvT0_PT_S4_S6_S4_,"axG",@progbits,_ZN9rocsolver6v33100L11swap_kernelI19rocblas_complex_numIfEiEEvT0_PT_S4_S6_S4_,comdat
.Lfunc_end16:
	.size	_ZN9rocsolver6v33100L11swap_kernelI19rocblas_complex_numIfEiEEvT0_PT_S4_S6_S4_, .Lfunc_end16-_ZN9rocsolver6v33100L11swap_kernelI19rocblas_complex_numIfEiEEvT0_PT_S4_S6_S4_
                                        ; -- End function
	.set _ZN9rocsolver6v33100L11swap_kernelI19rocblas_complex_numIfEiEEvT0_PT_S4_S6_S4_.num_vgpr, 12
	.set _ZN9rocsolver6v33100L11swap_kernelI19rocblas_complex_numIfEiEEvT0_PT_S4_S6_S4_.num_agpr, 0
	.set _ZN9rocsolver6v33100L11swap_kernelI19rocblas_complex_numIfEiEEvT0_PT_S4_S6_S4_.numbered_sgpr, 17
	.set _ZN9rocsolver6v33100L11swap_kernelI19rocblas_complex_numIfEiEEvT0_PT_S4_S6_S4_.num_named_barrier, 0
	.set _ZN9rocsolver6v33100L11swap_kernelI19rocblas_complex_numIfEiEEvT0_PT_S4_S6_S4_.private_seg_size, 0
	.set _ZN9rocsolver6v33100L11swap_kernelI19rocblas_complex_numIfEiEEvT0_PT_S4_S6_S4_.uses_vcc, 1
	.set _ZN9rocsolver6v33100L11swap_kernelI19rocblas_complex_numIfEiEEvT0_PT_S4_S6_S4_.uses_flat_scratch, 0
	.set _ZN9rocsolver6v33100L11swap_kernelI19rocblas_complex_numIfEiEEvT0_PT_S4_S6_S4_.has_dyn_sized_stack, 0
	.set _ZN9rocsolver6v33100L11swap_kernelI19rocblas_complex_numIfEiEEvT0_PT_S4_S6_S4_.has_recursion, 0
	.set _ZN9rocsolver6v33100L11swap_kernelI19rocblas_complex_numIfEiEEvT0_PT_S4_S6_S4_.has_indirect_call, 0
	.section	.AMDGPU.csdata,"",@progbits
; Kernel info:
; codeLenInByte = 416
; TotalNumSgprs: 23
; NumVgprs: 12
; NumAgprs: 0
; TotalNumVgprs: 12
; ScratchSize: 0
; MemoryBound: 0
; FloatMode: 240
; IeeeMode: 1
; LDSByteSize: 0 bytes/workgroup (compile time only)
; SGPRBlocks: 2
; VGPRBlocks: 1
; NumSGPRsForWavesPerEU: 23
; NumVGPRsForWavesPerEU: 12
; AccumOffset: 12
; Occupancy: 8
; WaveLimiterHint : 0
; COMPUTE_PGM_RSRC2:SCRATCH_EN: 0
; COMPUTE_PGM_RSRC2:USER_SGPR: 2
; COMPUTE_PGM_RSRC2:TRAP_HANDLER: 0
; COMPUTE_PGM_RSRC2:TGID_X_EN: 1
; COMPUTE_PGM_RSRC2:TGID_Y_EN: 0
; COMPUTE_PGM_RSRC2:TGID_Z_EN: 0
; COMPUTE_PGM_RSRC2:TIDIG_COMP_CNT: 0
; COMPUTE_PGM_RSRC3_GFX90A:ACCUM_OFFSET: 2
; COMPUTE_PGM_RSRC3_GFX90A:TG_SPLIT: 0
	.section	.text._ZN9rocsolver6v33100L12steqr_kernelI19rocblas_complex_numIfEfPS3_EEviPT0_lS6_lT1_iilPiS6_iS5_S5_S5_,"axG",@progbits,_ZN9rocsolver6v33100L12steqr_kernelI19rocblas_complex_numIfEfPS3_EEviPT0_lS6_lT1_iilPiS6_iS5_S5_S5_,comdat
	.globl	_ZN9rocsolver6v33100L12steqr_kernelI19rocblas_complex_numIfEfPS3_EEviPT0_lS6_lT1_iilPiS6_iS5_S5_S5_ ; -- Begin function _ZN9rocsolver6v33100L12steqr_kernelI19rocblas_complex_numIfEfPS3_EEviPT0_lS6_lT1_iilPiS6_iS5_S5_S5_
	.p2align	8
	.type	_ZN9rocsolver6v33100L12steqr_kernelI19rocblas_complex_numIfEfPS3_EEviPT0_lS6_lT1_iilPiS6_iS5_S5_S5_,@function
_ZN9rocsolver6v33100L12steqr_kernelI19rocblas_complex_numIfEfPS3_EEviPT0_lS6_lT1_iilPiS6_iS5_S5_S5_: ; @_ZN9rocsolver6v33100L12steqr_kernelI19rocblas_complex_numIfEfPS3_EEviPT0_lS6_lT1_iilPiS6_iS5_S5_S5_
; %bb.0:
	s_mov_b32 s38, s3
	s_load_dword s3, s[0:1], 0x6c
	s_load_dword s6, s[0:1], 0x60
	s_waitcnt lgkmcnt(0)
	s_and_b32 s7, s3, 0xffff
	s_mul_i32 s2, s2, s7
	v_add_u32_e32 v0, s2, v0
	v_cmp_eq_u32_e64 s[8:9], 0, v0
	s_and_saveexec_b64 s[2:3], s[8:9]
; %bb.1:
	v_mov_b32_e32 v1, 0
	ds_write2_b32 v1, v1, v1 offset0:3 offset1:7
; %bb.2:
	s_or_b64 exec, exec, s[2:3]
	s_load_dword s10, s[0:1], 0x0
	s_load_dwordx8 s[20:27], s[0:1], 0x8
	s_load_dwordx8 s[12:19], s[0:1], 0x28
	s_load_dwordx2 s[4:5], s[0:1], 0x48
	s_load_dwordx4 s[28:31], s[0:1], 0x50
	s_ashr_i32 s39, s38, 31
	s_waitcnt lgkmcnt(0)
	s_mul_hi_u32 s0, s22, s38
	s_mul_i32 s1, s22, s39
	s_add_i32 s0, s0, s1
	s_mul_i32 s1, s23, s38
	s_add_i32 s1, s0, s1
	s_mul_i32 s0, s22, s38
	v_mov_b32_e32 v46, 0
	s_lshl_b64 s[36:37], s[0:1], 2
	s_barrier
	ds_read2_b32 v[2:3], v46 offset0:3 offset1:7
	s_add_u32 s22, s20, s36
	s_mul_hi_u32 s0, s26, s38
	s_mul_i32 s1, s26, s39
	s_addc_u32 s23, s21, s37
	s_add_i32 s0, s0, s1
	s_mul_i32 s1, s27, s38
	s_add_i32 s43, s0, s1
	s_mul_hi_u32 s0, s16, s38
	s_mul_i32 s1, s16, s39
	s_add_i32 s0, s0, s1
	s_mul_i32 s1, s17, s38
	s_add_i32 s17, s0, s1
	s_waitcnt lgkmcnt(0)
	v_cmp_gt_i32_e32 vcc, s10, v2
	v_cmp_gt_i32_e64 s[0:1], s28, v3
	s_and_b64 s[0:1], vcc, s[0:1]
	s_mul_i32 s34, s6, s7
	s_mul_i32 s42, s26, s38
	s_ashr_i32 s27, s14, 31
	s_mov_b32 s26, s14
	s_mul_i32 s16, s16, s38
	v_readfirstlane_b32 s6, v2
	s_andn2_b64 vcc, exec, s[0:1]
	s_add_i32 s40, s10, -1
	s_cbranch_vccnz .LBB17_229
; %bb.3:
	s_lshl_b32 s2, s10, 1
	s_lshl_b64 s[0:1], s[42:43], 2
	s_add_u32 s44, s24, s0
	s_addc_u32 s45, s25, s1
	s_lshl_b64 s[0:1], s[16:17], 3
	s_add_u32 s3, s12, s0
	s_addc_u32 s7, s13, s1
	s_lshl_b64 s[62:63], s[26:27], 3
	s_add_u32 s14, s3, s62
	s_mul_hi_i32 s3, s2, s38
	s_mul_i32 s2, s2, s38
	s_addc_u32 s33, s7, s63
	s_lshl_b64 s[54:55], s[2:3], 2
	s_add_u32 s46, s4, s54
	s_addc_u32 s47, s5, s55
	s_ashr_i32 s11, s10, 31
	s_ashr_i32 s49, s15, 31
	s_add_u32 s50, s20, s36
	s_addc_u32 s51, s21, s37
	s_add_u32 s72, s50, 4
	s_addc_u32 s73, s51, 0
	s_ashr_i32 s35, s34, 31
	s_lshl_b64 s[52:53], s[34:35], 2
	s_lshl_b64 s[60:61], s[10:11], 2
	s_add_u32 s7, s54, s60
	s_addc_u32 s41, s55, s61
	s_add_u32 s4, s4, s7
	s_addc_u32 s5, s5, s41
	s_add_u32 s54, s4, -8
	s_addc_u32 s55, s5, -1
	s_add_u32 s56, s46, -4
	s_addc_u32 s57, s47, -1
	s_add_u32 s58, s44, -4
	s_addc_u32 s59, s45, -1
	s_add_u32 s60, s60, -4
	s_addc_u32 s61, s61, -1
	s_add_u32 s0, s0, s62
	s_addc_u32 s1, s1, s63
	s_mov_b32 s48, s15
	s_add_u32 s0, s12, s0
	s_addc_u32 s1, s13, s1
	s_lshl_b64 s[62:63], s[48:49], 3
	s_lshl_b64 s[64:65], s[34:35], 3
	s_sub_u32 s66, 0, s62
	s_subb_u32 s67, 0, s63
	v_ashrrev_i32_e32 v1, 31, v0
	s_add_u32 s68, s50, -4
	s_mov_b32 s92, 0x667f3bcd
	s_mov_b32 s94, 0.5
	v_mul_f32_e64 v47, s29, s29
	v_cmp_gt_i32_e64 s[2:3], s10, v0
	v_lshl_add_u64 v[2:3], v[0:1], 3, s[0:1]
	s_addc_u32 s69, s51, -1
	s_mov_b32 s71, 0
	s_mov_b32 s35, 0xf800000
	;; [unrolled: 1-line block ×3, first 2 shown]
	v_mov_b32_e32 v1, 0x260
	v_mov_b32_e32 v5, 2.0
	s_mov_b32 s93, 0x3ff6a09e
	s_mov_b32 s95, -0.5
                                        ; implicit-def: $vgpr50
                                        ; implicit-def: $vgpr14_vgpr15
                                        ; implicit-def: $vgpr16_vgpr17
                                        ; implicit-def: $vgpr18_vgpr19
                                        ; implicit-def: $vgpr6_vgpr7
                                        ; implicit-def: $vgpr49
                                        ; implicit-def: $vgpr12_vgpr13
                                        ; implicit-def: $vgpr48
                                        ; implicit-def: $vgpr8_vgpr9
                                        ; implicit-def: $vgpr10_vgpr11
	s_branch .LBB17_7
.LBB17_4:                               ;   in Loop: Header=BB17_7 Depth=1
	s_or_b64 exec, exec, s[0:1]
.LBB17_5:                               ;   in Loop: Header=BB17_7 Depth=1
	s_barrier
.LBB17_6:                               ;   in Loop: Header=BB17_7 Depth=1
	ds_read2_b32 v[20:21], v46 offset0:3 offset1:7
	s_waitcnt lgkmcnt(0)
	v_cmp_gt_i32_e32 vcc, s10, v20
	v_cmp_gt_i32_e64 s[0:1], s28, v21
	s_and_b64 s[0:1], vcc, s[0:1]
	s_andn2_b64 vcc, exec, s[0:1]
	v_readfirstlane_b32 s6, v20
	s_cbranch_vccnz .LBB17_229
.LBB17_7:                               ; =>This Loop Header: Depth=1
                                        ;     Child Loop BB17_15 Depth 2
                                        ;     Child Loop BB17_29 Depth 2
	;; [unrolled: 1-line block ×6, first 2 shown]
                                        ;       Child Loop BB17_67 Depth 3
                                        ;       Child Loop BB17_87 Depth 3
	;; [unrolled: 1-line block ×3, first 2 shown]
                                        ;         Child Loop BB17_135 Depth 4
                                        ;     Child Loop BB17_139 Depth 2
                                        ;       Child Loop BB17_145 Depth 3
                                        ;       Child Loop BB17_165 Depth 3
	;; [unrolled: 1-line block ×3, first 2 shown]
                                        ;         Child Loop BB17_213 Depth 4
                                        ;     Child Loop BB17_221 Depth 2
                                        ;     Child Loop BB17_228 Depth 2
	s_and_saveexec_b64 s[76:77], s[8:9]
	s_cbranch_execz .LBB17_37
; %bb.8:                                ;   in Loop: Header=BB17_7 Depth=1
	s_cmp_lt_i32 s6, 1
	s_cbranch_scc1 .LBB17_10
; %bb.9:                                ;   in Loop: Header=BB17_7 Depth=1
	s_mov_b32 s7, s71
	s_lshl_b64 s[0:1], s[6:7], 2
	s_add_u32 s0, s44, s0
	s_addc_u32 s1, s45, s1
	global_store_dword v46, v46, s[0:1] offset:-4
.LBB17_10:                              ;   in Loop: Header=BB17_7 Depth=1
	s_mov_b64 s[4:5], -1
	s_mov_b64 s[0:1], 0
	s_cmp_lt_i32 s6, s40
	s_mov_b64 s[78:79], 0
	s_cbranch_scc1 .LBB17_12
; %bb.11:                               ;   in Loop: Header=BB17_7 Depth=1
	s_ashr_i32 s7, s6, 31
	s_mov_b64 s[4:5], 0
	s_mov_b64 s[78:79], -1
.LBB17_12:                              ;   in Loop: Header=BB17_7 Depth=1
	s_andn2_b64 vcc, exec, s[4:5]
	s_cbranch_vccnz .LBB17_17
; %bb.13:                               ;   in Loop: Header=BB17_7 Depth=1
	s_ashr_i32 s7, s6, 31
	s_lshl_b64 s[0:1], s[6:7], 2
	s_add_u32 s86, s44, s0
	s_addc_u32 s87, s45, s1
	s_add_u32 s84, s72, s0
	s_addc_u32 s85, s73, s1
	s_mov_b64 s[88:89], s[6:7]
	s_branch .LBB17_15
.LBB17_14:                              ;   in Loop: Header=BB17_15 Depth=2
	s_andn2_b64 vcc, exec, s[0:1]
	s_cbranch_vccz .LBB17_18
.LBB17_15:                              ;   Parent Loop BB17_7 Depth=1
                                        ; =>  This Inner Loop Header: Depth=2
	global_load_dwordx2 v[14:15], v46, s[84:85] offset:-4
	global_load_dword v4, v46, s[86:87]
	s_mov_b64 s[80:81], s[86:87]
	s_mov_b64 s[82:83], s[88:89]
	s_mov_b64 s[90:91], -1
                                        ; implicit-def: $sgpr88_sgpr89
                                        ; implicit-def: $sgpr86_sgpr87
	s_waitcnt vmcnt(1)
	v_mul_f32_e64 v16, |v14|, s74
	v_cmp_lt_f32_e64 vcc, |v14|, s35
	v_mul_f32_e64 v17, |v15|, s74
	v_cmp_lt_f32_e64 s[0:1], |v15|, s35
	v_cndmask_b32_e64 v14, |v14|, v16, vcc
	v_sqrt_f32_e32 v16, v14
	v_cndmask_b32_e64 v15, |v15|, v17, s[0:1]
	v_sqrt_f32_e32 v17, v15
	v_add_u32_e32 v18, -1, v16
	v_fma_f32 v22, -v18, v16, v14
	v_add_u32_e32 v20, -1, v17
	v_add_u32_e32 v19, 1, v16
	v_fma_f32 v24, -v20, v17, v15
	v_cmp_ge_f32_e64 s[4:5], 0, v22
	v_add_u32_e32 v21, 1, v17
	v_fma_f32 v23, -v19, v16, v14
	v_cndmask_b32_e64 v16, v16, v18, s[4:5]
	v_cmp_ge_f32_e64 s[4:5], 0, v24
	v_fma_f32 v25, -v21, v17, v15
	s_nop 0
	v_cndmask_b32_e64 v17, v17, v20, s[4:5]
	v_cmp_lt_f32_e64 s[4:5], 0, v23
	s_nop 1
	v_cndmask_b32_e64 v16, v16, v19, s[4:5]
	v_cmp_lt_f32_e64 s[4:5], 0, v25
	v_mul_f32_e32 v18, 0x37800000, v16
	v_cndmask_b32_e32 v16, v16, v18, vcc
	v_cndmask_b32_e64 v17, v17, v21, s[4:5]
	v_mul_f32_e32 v19, 0x37800000, v17
	v_cmp_class_f32_e32 vcc, v14, v1
	v_cndmask_b32_e64 v17, v17, v19, s[0:1]
	s_nop 0
	v_cndmask_b32_e32 v14, v16, v14, vcc
	v_cmp_class_f32_e32 vcc, v15, v1
	s_nop 1
	v_cndmask_b32_e32 v15, v17, v15, vcc
	v_mul_f32_e32 v14, v14, v15
	v_mul_f32_e32 v14, s29, v14
	s_waitcnt vmcnt(0)
	v_cmp_nle_f32_e64 s[0:1], |v4|, v14
	s_and_b64 vcc, exec, s[0:1]
	s_mov_b64 s[0:1], -1
	s_cbranch_vccz .LBB17_14
; %bb.16:                               ;   in Loop: Header=BB17_15 Depth=2
	s_add_u32 s88, s82, 1
	s_addc_u32 s89, s83, 0
	s_add_u32 s86, s80, 4
	s_addc_u32 s87, s81, 0
	s_add_u32 s84, s84, 4
	s_addc_u32 s85, s85, 0
	s_cmp_ge_i32 s88, s40
	s_mov_b64 s[90:91], 0
	s_cselect_b64 s[0:1], -1, 0
	s_branch .LBB17_14
.LBB17_17:                              ;   in Loop: Header=BB17_7 Depth=1
	s_mov_b32 s41, s6
	s_mov_b64 s[4:5], s[6:7]
	s_and_b64 vcc, exec, s[78:79]
	s_cbranch_vccnz .LBB17_21
	s_branch .LBB17_22
.LBB17_18:                              ;   in Loop: Header=BB17_7 Depth=1
	s_xor_b64 s[4:5], s[90:91], -1
	s_mov_b64 s[0:1], -1
	s_and_b64 vcc, exec, s[4:5]
                                        ; implicit-def: $sgpr4_sgpr5
	s_cbranch_vccz .LBB17_20
; %bb.19:                               ;   in Loop: Header=BB17_7 Depth=1
	s_ashr_i32 s41, s40, 31
	s_mov_b64 s[78:79], -1
	s_mov_b64 s[0:1], 0
	s_mov_b64 s[4:5], s[40:41]
.LBB17_20:                              ;   in Loop: Header=BB17_7 Depth=1
	v_mov_b32_e32 v50, s82
	v_mov_b64_e32 v[14:15], s[82:83]
	v_mov_b64_e32 v[16:17], s[80:81]
	;; [unrolled: 1-line block ×3, first 2 shown]
	s_mov_b32 s41, s40
	s_and_b64 vcc, exec, s[78:79]
	s_cbranch_vccz .LBB17_22
.LBB17_21:                              ;   in Loop: Header=BB17_7 Depth=1
	v_mov_b32_e32 v4, s41
	ds_write_b32 v46, v4 offset:4
.LBB17_22:                              ;   in Loop: Header=BB17_7 Depth=1
	s_andn2_b64 vcc, exec, s[0:1]
	v_mov_b64_e32 v[20:21], s[6:7]
	v_mov_b64_e32 v[22:23], s[4:5]
	v_mov_b32_e32 v4, s41
	s_cbranch_vccnz .LBB17_24
; %bb.23:                               ;   in Loop: Header=BB17_7 Depth=1
	v_mov_b64_e32 v[20:21], v[18:19]
	v_mov_b64_e32 v[22:23], v[14:15]
	v_mov_b32_e32 v4, v50
	ds_write_b32 v46, v50 offset:4
	global_store_dword v[16:17], v46, off
.LBB17_24:                              ;   in Loop: Header=BB17_7 Depth=1
	v_lshl_add_u64 v[22:23], v[22:23], 2, s[22:23]
	v_lshl_add_u64 v[24:25], v[20:21], 2, s[22:23]
	global_load_dword v20, v[22:23], off
	global_load_dword v21, v[24:25], off
	v_mov_b32_e32 v22, s6
	ds_write2_b32 v46, v22, v4 offset1:5
	ds_write_b32 v46, v4 offset:32
	v_add_u32_e32 v22, 1, v4
	v_mov_b32_e32 v23, s6
	ds_write2_b32 v46, v22, v23 offset0:3 offset1:4
	s_waitcnt vmcnt(0)
	v_cmp_lt_f32_e64 s[4:5], |v20|, |v21|
	s_and_saveexec_b64 s[0:1], s[4:5]
; %bb.25:                               ;   in Loop: Header=BB17_7 Depth=1
	v_mov_b32_e32 v21, s6
	ds_write2_b32 v46, v4, v21 offset1:5
; %bb.26:                               ;   in Loop: Header=BB17_7 Depth=1
	s_or_b64 exec, exec, s[0:1]
	v_and_b32_e32 v26, 0x7fffffff, v20
	v_cmp_lt_i32_e32 vcc, s6, v4
	s_and_saveexec_b64 s[4:5], vcc
	s_cbranch_execz .LBB17_36
; %bb.27:                               ;   in Loop: Header=BB17_7 Depth=1
	v_subrev_u32_e32 v21, s6, v4
	v_cmp_lt_u32_e32 vcc, 1, v21
	s_mov_b64 s[80:81], -1
	v_mov_b32_e32 v20, s6
	s_and_saveexec_b64 s[78:79], vcc
	s_cbranch_execz .LBB17_31
; %bb.28:                               ;   in Loop: Header=BB17_7 Depth=1
	v_and_b32_e32 v22, -2, v21
	v_add_u32_e32 v20, -2, v22
	s_mov_b32 s7, 0
	s_mov_b64 s[82:83], 0
	v_mov_b32_e32 v25, v26
                                        ; implicit-def: $sgpr80_sgpr81
.LBB17_29:                              ;   Parent Loop BB17_7 Depth=1
                                        ; =>  This Inner Loop Header: Depth=2
	s_add_i32 s0, s6, s7
	s_ashr_i32 s1, s0, 31
	s_lshl_b64 s[0:1], s[0:1], 2
	s_add_u32 s84, s22, s0
	s_addc_u32 s85, s23, s1
	s_add_u32 s0, s44, s0
	s_addc_u32 s1, s45, s1
	global_load_dwordx2 v[28:29], v46, s[84:85]
	global_load_dwordx2 v[30:31], v46, s[0:1]
	v_mov_b32_e32 v24, v25
	v_mov_b32_e32 v23, v26
	v_max_f32_e32 v25, v24, v24
	v_max_f32_e32 v26, v23, v23
	v_cmp_eq_u32_e32 vcc, s7, v20
	v_mov_b32_e32 v27, s7
	s_add_i32 s7, s7, 2
	s_waitcnt vmcnt(1)
	v_max_f32_e64 v29, |v29|, |v29|
	s_waitcnt vmcnt(0)
	v_max_f32_e64 v31, |v31|, |v31|
	v_max_f32_e64 v28, |v28|, |v28|
	;; [unrolled: 1-line block ×3, first 2 shown]
	v_max_f32_e32 v29, v29, v31
	v_max_f32_e32 v28, v28, v30
	v_cmp_u_f32_e64 s[0:1], v29, v29
	v_max_f32_e32 v25, v25, v29
	v_max_f32_e32 v26, v26, v28
	v_cndmask_b32_e64 v29, 0, 1, s[0:1]
	v_cmp_u_f32_e64 s[0:1], v28, v28
	s_nop 1
	v_cndmask_b32_e64 v28, 0, 1, s[0:1]
	v_readfirstlane_b32 s0, v29
	v_readfirstlane_b32 s1, v28
	s_lshl_b32 s0, s0, 1
	s_or_b32 s0, s1, s0
	s_and_b32 s0, s0, 3
	s_cmp_lg_u32 s0, 0
	s_cselect_b64 s[0:1], -1, 0
	s_or_b64 s[84:85], s[0:1], vcc
	s_and_b64 s[84:85], exec, s[84:85]
	s_or_b64 s[82:83], s[84:85], s[82:83]
	s_andn2_b64 s[80:81], s[80:81], exec
	s_and_b64 s[0:1], s[0:1], exec
	s_or_b64 s[80:81], s[80:81], s[0:1]
	s_andn2_b64 exec, exec, s[82:83]
	s_cbranch_execnz .LBB17_29
; %bb.30:                               ;   in Loop: Header=BB17_7 Depth=1
	s_or_b64 exec, exec, s[82:83]
	v_cndmask_b32_e64 v20, v26, v23, s[80:81]
	v_cndmask_b32_e64 v23, v25, v24, s[80:81]
	v_cmp_ne_u32_e32 vcc, v21, v22
	v_cndmask_b32_e64 v24, v22, v27, s[80:81]
	v_max_f32_e32 v23, v23, v23
	v_max_f32_e32 v20, v20, v20
	s_or_b64 s[0:1], vcc, s[80:81]
	v_max_f32_e32 v26, v20, v23
	v_add_u32_e32 v20, s6, v24
	s_orn2_b64 s[80:81], s[0:1], exec
.LBB17_31:                              ;   in Loop: Header=BB17_7 Depth=1
	s_or_b64 exec, exec, s[78:79]
	s_and_saveexec_b64 s[0:1], s[80:81]
	s_cbranch_execz .LBB17_35
; %bb.32:                               ;   in Loop: Header=BB17_7 Depth=1
	v_ashrrev_i32_e32 v21, 31, v20
	v_lshlrev_b64 v[24:25], 2, v[20:21]
	v_lshl_add_u64 v[22:23], s[50:51], 0, v[24:25]
	v_lshl_add_u64 v[24:25], s[44:45], 0, v[24:25]
	s_mov_b64 s[6:7], 0
.LBB17_33:                              ;   Parent Loop BB17_7 Depth=1
                                        ; =>  This Inner Loop Header: Depth=2
	global_load_dword v21, v[22:23], off
	global_load_dword v27, v[24:25], off
	v_add_u32_e32 v20, 1, v20
	v_cmp_ge_i32_e32 vcc, v20, v4
	v_lshl_add_u64 v[22:23], v[22:23], 0, 4
	v_lshl_add_u64 v[24:25], v[24:25], 0, 4
	s_or_b64 s[6:7], vcc, s[6:7]
	s_waitcnt vmcnt(0)
	v_max3_f32 v26, v26, |v21|, |v27|
	s_andn2_b64 exec, exec, s[6:7]
	s_cbranch_execnz .LBB17_33
; %bb.34:                               ;   in Loop: Header=BB17_7 Depth=1
	s_or_b64 exec, exec, s[6:7]
.LBB17_35:                              ;   in Loop: Header=BB17_7 Depth=1
	s_or_b64 exec, exec, s[0:1]
.LBB17_36:                              ;   in Loop: Header=BB17_7 Depth=1
	s_or_b64 exec, exec, s[4:5]
	ds_write_b32 v46, v26 offset:24
.LBB17_37:                              ;   in Loop: Header=BB17_7 Depth=1
	s_or_b64 exec, exec, s[76:77]
	s_waitcnt lgkmcnt(0)
	s_barrier
	ds_read2_b32 v[20:21], v46 offset0:5 offset1:6
	ds_read_b32 v4, v46
	s_waitcnt lgkmcnt(1)
	v_cmp_eq_f32_e64 s[0:1], 0, v21
	s_waitcnt lgkmcnt(0)
	v_cmp_eq_u32_e32 vcc, v20, v4
	s_or_b64 s[0:1], vcc, s[0:1]
	s_and_b64 vcc, exec, s[0:1]
	s_cbranch_vccnz .LBB17_6
; %bb.38:                               ;   in Loop: Header=BB17_7 Depth=1
	v_cmp_nlt_f32_e32 vcc, s31, v21
	s_mov_b64 s[0:1], -1
	s_cbranch_vccz .LBB17_47
; %bb.39:                               ;   in Loop: Header=BB17_7 Depth=1
	v_cmp_ngt_f32_e32 vcc, s30, v21
	s_cbranch_vccnz .LBB17_46
; %bb.40:                               ;   in Loop: Header=BB17_7 Depth=1
	v_div_scale_f32 v4, s[0:1], s30, s30, v21
	v_rcp_f32_e32 v20, v4
	ds_read2_b32 v[22:23], v46 offset0:4 offset1:8
	v_fma_f32 v24, -v4, v20, 1.0
	v_fmac_f32_e32 v20, v24, v20
	v_div_scale_f32 v24, vcc, v21, s30, v21
	v_mul_f32_e32 v25, v24, v20
	v_fma_f32 v26, -v4, v25, v24
	v_fmac_f32_e32 v25, v26, v20
	v_fma_f32 v4, -v4, v25, v24
	v_div_fmas_f32 v4, v4, v20, v25
	v_div_fixup_f32 v4, v4, s30, v21
	s_and_saveexec_b64 s[0:1], s[8:9]
	s_cbranch_execz .LBB17_42
; %bb.41:                               ;   in Loop: Header=BB17_7 Depth=1
	s_waitcnt lgkmcnt(0)
	v_ashrrev_i32_e32 v25, 31, v23
	v_mov_b32_e32 v24, v23
	v_lshlrev_b64 v[24:25], 2, v[24:25]
	v_lshl_add_u64 v[24:25], s[22:23], 0, v[24:25]
	global_load_dword v20, v[24:25], off
	s_waitcnt vmcnt(0)
	v_mul_f32_e32 v20, v4, v20
	global_store_dword v[24:25], v20, off
.LBB17_42:                              ;   in Loop: Header=BB17_7 Depth=1
	s_or_b64 exec, exec, s[0:1]
	s_waitcnt lgkmcnt(0)
	v_add_u32_e32 v24, v22, v0
	v_cmp_lt_i32_e32 vcc, v24, v23
	s_and_saveexec_b64 s[0:1], vcc
	s_cbranch_execz .LBB17_45
; %bb.43:                               ;   in Loop: Header=BB17_7 Depth=1
	v_ashrrev_i32_e32 v25, 31, v24
	v_lshlrev_b64 v[26:27], 2, v[24:25]
	s_mov_b64 s[4:5], 0
.LBB17_44:                              ;   Parent Loop BB17_7 Depth=1
                                        ; =>  This Inner Loop Header: Depth=2
	v_lshl_add_u64 v[28:29], s[22:23], 0, v[26:27]
	global_load_dword v20, v[28:29], off
	v_lshl_add_u64 v[30:31], s[44:45], 0, v[26:27]
	v_add_u32_e32 v24, s34, v24
	v_cmp_ge_i32_e32 vcc, v24, v23
	v_lshl_add_u64 v[26:27], v[26:27], 0, s[52:53]
	s_or_b64 s[4:5], vcc, s[4:5]
	s_waitcnt vmcnt(0)
	v_mul_f32_e32 v20, v4, v20
	global_store_dword v[28:29], v20, off
	global_load_dword v20, v[30:31], off
	s_waitcnt vmcnt(0)
	v_mul_f32_e32 v20, v4, v20
	global_store_dword v[30:31], v20, off
	s_andn2_b64 exec, exec, s[4:5]
	s_cbranch_execnz .LBB17_44
.LBB17_45:                              ;   in Loop: Header=BB17_7 Depth=1
	s_or_b64 exec, exec, s[0:1]
.LBB17_46:                              ;   in Loop: Header=BB17_7 Depth=1
	s_mov_b64 s[0:1], 0
.LBB17_47:                              ;   in Loop: Header=BB17_7 Depth=1
	s_andn2_b64 vcc, exec, s[0:1]
	s_cbranch_vccnz .LBB17_54
; %bb.48:                               ;   in Loop: Header=BB17_7 Depth=1
	v_div_scale_f32 v4, s[0:1], s31, s31, v21
	v_rcp_f32_e32 v20, v4
	ds_read2_b32 v[22:23], v46 offset0:4 offset1:8
	v_fma_f32 v24, -v4, v20, 1.0
	v_fmac_f32_e32 v20, v24, v20
	v_div_scale_f32 v24, vcc, v21, s31, v21
	v_mul_f32_e32 v25, v24, v20
	v_fma_f32 v26, -v4, v25, v24
	v_fmac_f32_e32 v25, v26, v20
	v_fma_f32 v4, -v4, v25, v24
	v_div_fmas_f32 v4, v4, v20, v25
	v_div_fixup_f32 v4, v4, s31, v21
	s_and_saveexec_b64 s[0:1], s[8:9]
	s_cbranch_execz .LBB17_50
; %bb.49:                               ;   in Loop: Header=BB17_7 Depth=1
	s_waitcnt lgkmcnt(0)
	v_ashrrev_i32_e32 v21, 31, v23
	v_mov_b32_e32 v20, v23
	v_lshlrev_b64 v[20:21], 2, v[20:21]
	v_lshl_add_u64 v[20:21], s[22:23], 0, v[20:21]
	global_load_dword v24, v[20:21], off
	s_waitcnt vmcnt(0)
	v_mul_f32_e32 v24, v4, v24
	global_store_dword v[20:21], v24, off
.LBB17_50:                              ;   in Loop: Header=BB17_7 Depth=1
	s_or_b64 exec, exec, s[0:1]
	s_waitcnt lgkmcnt(0)
	v_add_u32_e32 v20, v22, v0
	v_cmp_lt_i32_e32 vcc, v20, v23
	s_and_saveexec_b64 s[0:1], vcc
	s_cbranch_execz .LBB17_53
; %bb.51:                               ;   in Loop: Header=BB17_7 Depth=1
	v_ashrrev_i32_e32 v21, 31, v20
	v_lshlrev_b64 v[24:25], 2, v[20:21]
	s_mov_b64 s[4:5], 0
.LBB17_52:                              ;   Parent Loop BB17_7 Depth=1
                                        ; =>  This Inner Loop Header: Depth=2
	v_lshl_add_u64 v[26:27], s[22:23], 0, v[24:25]
	global_load_dword v21, v[26:27], off
	v_lshl_add_u64 v[28:29], s[44:45], 0, v[24:25]
	v_add_u32_e32 v20, s34, v20
	v_cmp_ge_i32_e32 vcc, v20, v23
	v_lshl_add_u64 v[24:25], v[24:25], 0, s[52:53]
	s_or_b64 s[4:5], vcc, s[4:5]
	s_waitcnt vmcnt(0)
	v_mul_f32_e32 v21, v4, v21
	global_store_dword v[26:27], v21, off
	global_load_dword v21, v[28:29], off
	s_waitcnt vmcnt(0)
	v_mul_f32_e32 v21, v4, v21
	global_store_dword v[28:29], v21, off
	s_andn2_b64 exec, exec, s[4:5]
	s_cbranch_execnz .LBB17_52
.LBB17_53:                              ;   in Loop: Header=BB17_7 Depth=1
	s_or_b64 exec, exec, s[0:1]
.LBB17_54:                              ;   in Loop: Header=BB17_7 Depth=1
	s_barrier
	ds_read2_b32 v[20:21], v46 offset1:5
	ds_read_b32 v23, v46 offset:28
	s_mov_b64 s[6:7], -1
                                        ; implicit-def: $vgpr26_vgpr27
                                        ; implicit-def: $vgpr24_vgpr25
	s_waitcnt lgkmcnt(1)
	v_cmp_lt_i32_e32 vcc, v21, v20
	s_waitcnt lgkmcnt(0)
	v_cmp_gt_i32_e64 s[0:1], s28, v23
	v_mov_b32_e32 v22, v21
	s_nop 0
	v_cndmask_b32_e64 v4, 0, 1, s[0:1]
	v_cmp_ne_u32_e64 s[4:5], 1, v4
                                        ; implicit-def: $vgpr21
	s_cbranch_vccnz .LBB17_57
; %bb.55:                               ;   in Loop: Header=BB17_7 Depth=1
	s_and_b64 vcc, exec, s[4:5]
	v_mov_b64_e32 v[26:27], v[10:11]
	v_mov_b64_e32 v[24:25], v[8:9]
	v_mov_b32_e32 v21, v48
	v_mov_b32_e32 v37, v23
	v_mov_b32_e32 v36, v22
	v_mov_b32_e32 v28, v20
	s_cbranch_vccz .LBB17_61
.LBB17_56:                              ;   in Loop: Header=BB17_7 Depth=1
	s_mov_b64 s[6:7], 0
.LBB17_57:                              ;   in Loop: Header=BB17_7 Depth=1
	s_andn2_b64 vcc, exec, s[6:7]
	s_cbranch_vccnz .LBB17_215
; %bb.58:                               ;   in Loop: Header=BB17_7 Depth=1
	s_and_b64 vcc, exec, s[4:5]
	s_cbranch_vccz .LBB17_139
	s_branch .LBB17_216
.LBB17_59:                              ;   in Loop: Header=BB17_61 Depth=2
	s_or_b64 exec, exec, s[0:1]
	s_barrier
	ds_read_b32 v28, v46
.LBB17_60:                              ;   in Loop: Header=BB17_61 Depth=2
	ds_read2_b32 v[36:37], v46 offset0:5 offset1:7
	s_waitcnt lgkmcnt(0)
	v_cmp_le_i32_e32 vcc, v28, v36
	v_cmp_gt_i32_e64 s[0:1], s28, v37
	s_and_b64 s[0:1], vcc, s[0:1]
	s_andn2_b64 vcc, exec, s[0:1]
	s_cbranch_vccnz .LBB17_56
.LBB17_61:                              ;   Parent Loop BB17_7 Depth=1
                                        ; =>  This Loop Header: Depth=2
                                        ;       Child Loop BB17_67 Depth 3
                                        ;       Child Loop BB17_87 Depth 3
	;; [unrolled: 1-line block ×3, first 2 shown]
                                        ;         Child Loop BB17_135 Depth 4
	s_and_saveexec_b64 s[76:77], s[8:9]
	s_cbranch_execz .LBB17_130
; %bb.62:                               ;   in Loop: Header=BB17_61 Depth=2
	v_cmp_lt_i32_e32 vcc, v28, v36
	s_mov_b64 s[0:1], 0
	s_cbranch_vccnz .LBB17_64
; %bb.63:                               ;   in Loop: Header=BB17_61 Depth=2
	v_ashrrev_i32_e32 v29, 31, v28
	s_mov_b64 s[6:7], -1
	v_mov_b64_e32 v[34:35], v[28:29]
	v_mov_b32_e32 v32, v28
	s_cbranch_execz .LBB17_65
	s_branch .LBB17_70
.LBB17_64:                              ;   in Loop: Header=BB17_61 Depth=2
                                        ; implicit-def: $vgpr34_vgpr35
	s_mov_b64 s[6:7], 0
	v_mov_b32_e32 v32, v28
.LBB17_65:                              ;   in Loop: Header=BB17_61 Depth=2
	v_ashrrev_i32_e32 v29, 31, v28
	v_lshlrev_b64 v[24:25], 2, v[28:29]
	v_lshl_add_u64 v[30:31], s[44:45], 0, v[24:25]
	v_lshl_add_u64 v[26:27], s[50:51], 0, v[24:25]
	v_mov_b32_e32 v4, v28
	s_branch .LBB17_67
.LBB17_66:                              ;   in Loop: Header=BB17_67 Depth=3
	v_add_u32_e32 v4, 1, v21
	v_lshl_add_u64 v[30:31], v[24:25], 0, 4
	v_lshl_add_u64 v[26:27], v[26:27], 0, 4
	s_mov_b64 s[0:1], 0
	v_cmp_ge_i32_e64 s[6:7], v4, v36
	s_andn2_b64 vcc, exec, s[6:7]
	s_cbranch_vccz .LBB17_69
.LBB17_67:                              ;   Parent Loop BB17_7 Depth=1
                                        ;     Parent Loop BB17_61 Depth=2
                                        ; =>    This Inner Loop Header: Depth=3
	v_mov_b64_e32 v[24:25], v[30:31]
	global_load_dwordx2 v[30:31], v[26:27], off
	global_load_dword v32, v[24:25], off
	v_mov_b32_e32 v21, v4
	s_waitcnt vmcnt(1)
	v_mul_f32_e32 v4, v30, v31
	s_waitcnt vmcnt(0)
	v_mul_f32_e32 v30, v32, v32
	v_mul_f32_e64 v4, v47, |v4|
	v_cmp_le_f32_e64 s[0:1], |v30|, v4
	s_and_b64 vcc, exec, s[0:1]
	s_cbranch_vccz .LBB17_66
; %bb.68:                               ;   in Loop: Header=BB17_61 Depth=2
	s_mov_b64 s[0:1], -1
                                        ; implicit-def: $vgpr4
                                        ; implicit-def: $vgpr30_vgpr31
                                        ; implicit-def: $vgpr26_vgpr27
.LBB17_69:                              ;   in Loop: Header=BB17_61 Depth=2
	s_xor_b64 s[6:7], s[0:1], -1
	s_mov_b64 s[0:1], -1
	v_mov_b64_e32 v[26:27], v[28:29]
	v_mov_b32_e32 v32, v36
	v_mov_b64_e32 v[34:35], v[28:29]
.LBB17_70:                              ;   in Loop: Header=BB17_61 Depth=2
	s_and_b64 vcc, exec, s[6:7]
	s_cbranch_vccnz .LBB17_99
; %bb.71:                               ;   in Loop: Header=BB17_61 Depth=2
	s_andn2_b64 vcc, exec, s[0:1]
	s_cbranch_vccnz .LBB17_73
.LBB17_72:                              ;   in Loop: Header=BB17_61 Depth=2
	v_mov_b64_e32 v[34:35], v[26:27]
	v_mov_b32_e32 v32, v21
	ds_write2_b32 v46, v21, v28 offset0:1 offset1:4
	global_store_dword v[24:25], v46, off
.LBB17_73:                              ;   in Loop: Header=BB17_61 Depth=2
	v_lshl_add_u64 v[30:31], v[34:35], 2, s[22:23]
	global_load_dword v36, v[30:31], off
	v_cmp_ne_u32_e32 vcc, v32, v28
	v_add_u32_e32 v4, 1, v28
	s_waitcnt vmcnt(0)
	ds_write_b32 v46, v36 offset:8
	s_and_saveexec_b64 s[0:1], vcc
	s_xor_b64 s[78:79], exec, s[0:1]
	s_cbranch_execz .LBB17_127
; %bb.74:                               ;   in Loop: Header=BB17_61 Depth=2
	v_cmp_ne_u32_e32 vcc, v32, v4
	s_and_saveexec_b64 s[0:1], vcc
	s_xor_b64 s[6:7], exec, s[0:1]
	s_cbranch_execz .LBB17_103
; %bb.75:                               ;   in Loop: Header=BB17_61 Depth=2
	v_lshl_add_u64 v[34:35], v[34:35], 2, s[44:45]
	global_load_dword v4, v[30:31], off offset:4
	global_load_dword v38, v[34:35], off
	v_ashrrev_i32_e32 v33, 31, v32
	v_lshl_add_u64 v[40:41], v[32:33], 2, s[22:23]
	global_load_dword v29, v[40:41], off
	v_add_u32_e32 v37, 1, v37
	ds_write2_b32 v46, v46, v37 offset0:2 offset1:7
	s_waitcnt vmcnt(2)
	v_sub_f32_e32 v4, v4, v36
	s_waitcnt vmcnt(1)
	v_add_f32_e32 v39, v38, v38
	v_div_scale_f32 v42, s[0:1], v39, v39, v4
	v_rcp_f32_e32 v43, v42
	v_div_scale_f32 v44, vcc, v4, v39, v4
	v_fma_f32 v45, -v42, v43, 1.0
	v_fmac_f32_e32 v43, v45, v43
	v_mul_f32_e32 v45, v44, v43
	v_fma_f32 v51, -v42, v45, v44
	v_fmac_f32_e32 v45, v51, v43
	v_fma_f32 v42, -v42, v45, v44
	v_div_fmas_f32 v42, v42, v43, v45
	v_div_fixup_f32 v39, v42, v39, v4
	v_fma_f32 v4, v39, v39, 1.0
	v_mul_f32_e32 v42, 0x4f800000, v4
	v_cmp_gt_f32_e32 vcc, s35, v4
	s_nop 1
	v_cndmask_b32_e32 v42, v4, v42, vcc
	v_sqrt_f32_e32 v43, v42
	v_mov_b32_e32 v4, 0
	v_add_u32_e32 v37, -1, v43
	v_add_u32_e32 v44, 1, v43
	v_fma_f32 v45, -v37, v43, v42
	v_fma_f32 v51, -v44, v43, v42
	v_cmp_ge_f32_e64 s[0:1], 0, v45
	s_nop 1
	v_cndmask_b32_e64 v37, v43, v37, s[0:1]
	v_cmp_lt_f32_e64 s[0:1], 0, v51
	s_nop 1
	v_cndmask_b32_e64 v37, v37, v44, s[0:1]
	v_mul_f32_e32 v43, 0x37800000, v37
	v_cndmask_b32_e32 v37, v37, v43, vcc
	v_cmp_class_f32_e32 vcc, v42, v1
	s_waitcnt vmcnt(0)
	v_sub_f32_e32 v43, v29, v36
	v_cndmask_b32_e32 v37, v37, v42, vcc
	v_cmp_nle_f32_e32 vcc, 0, v39
	s_nop 1
	v_cndmask_b32_e64 v37, |v37|, -|v37|, vcc
	v_add_f32_e32 v37, v39, v37
	v_div_scale_f32 v39, s[0:1], v37, v37, v38
	v_rcp_f32_e32 v42, v39
	v_div_scale_f32 v44, vcc, v38, v37, v38
	v_fma_f32 v45, -v39, v42, 1.0
	v_fmac_f32_e32 v42, v45, v42
	v_mul_f32_e32 v45, v44, v42
	v_fma_f32 v51, -v39, v45, v44
	v_fmac_f32_e32 v45, v51, v42
	v_fma_f32 v39, -v39, v45, v44
	v_div_fmas_f32 v39, v39, v42, v45
	v_div_fixup_f32 v37, v39, v37, v38
	v_add_f32_e32 v37, v43, v37
	v_cmp_gt_i32_e32 vcc, v32, v28
	s_and_saveexec_b64 s[80:81], vcc
	s_cbranch_execz .LBB17_102
; %bb.76:                               ;   in Loop: Header=BB17_61 Depth=2
	v_lshl_add_u64 v[38:39], v[32:33], 2, s[44:45]
	global_load_dword v36, v[38:39], off offset:-4
	v_mov_b32_e32 v38, 0
	v_mov_b32_e32 v39, 1.0
	s_waitcnt vmcnt(0)
	v_cmp_neq_f32_e32 vcc, 0, v36
	s_and_saveexec_b64 s[82:83], vcc
	s_cbranch_execz .LBB17_84
; %bb.77:                               ;   in Loop: Header=BB17_61 Depth=2
	v_mov_b32_e32 v39, 0
	v_cmp_neq_f32_e32 vcc, 0, v37
	v_mov_b32_e32 v38, 1.0
	s_and_saveexec_b64 s[84:85], vcc
	s_cbranch_execz .LBB17_83
; %bb.78:                               ;   in Loop: Header=BB17_61 Depth=2
	v_cmp_ngt_f32_e64 s[0:1], |v36|, |v37|
                                        ; implicit-def: $vgpr39
	s_and_saveexec_b64 s[86:87], s[0:1]
	s_xor_b64 s[86:87], exec, s[86:87]
	s_cbranch_execz .LBB17_80
; %bb.79:                               ;   in Loop: Header=BB17_61 Depth=2
	v_div_scale_f32 v4, s[0:1], v37, v37, -v36
	v_rcp_f32_e32 v38, v4
	v_div_scale_f32 v39, vcc, -v36, v37, -v36
	v_fma_f32 v42, -v4, v38, 1.0
	v_fmac_f32_e32 v38, v42, v38
	v_mul_f32_e32 v42, v39, v38
	v_fma_f32 v43, -v4, v42, v39
	v_fmac_f32_e32 v42, v43, v38
	v_fma_f32 v4, -v4, v42, v39
	v_div_fmas_f32 v4, v4, v38, v42
	v_div_fixup_f32 v4, v4, v37, -v36
	v_fma_f32 v37, v4, v4, 1.0
	v_mul_f32_e32 v38, 0x4f800000, v37
	v_cmp_gt_f32_e32 vcc, s35, v37
	s_nop 1
	v_cndmask_b32_e32 v37, v37, v38, vcc
	v_sqrt_f32_e32 v38, v37
	s_nop 0
	v_add_u32_e32 v39, -1, v38
	v_fma_f32 v42, -v39, v38, v37
	v_cmp_ge_f32_e64 s[0:1], 0, v42
	v_add_u32_e32 v42, 1, v38
	s_nop 0
	v_cndmask_b32_e64 v39, v38, v39, s[0:1]
	v_fma_f32 v38, -v42, v38, v37
	v_cmp_lt_f32_e64 s[0:1], 0, v38
	s_nop 1
	v_cndmask_b32_e64 v38, v39, v42, s[0:1]
	v_mul_f32_e32 v39, 0x37800000, v38
	v_cndmask_b32_e32 v38, v38, v39, vcc
	v_cmp_class_f32_e32 vcc, v37, v1
	s_nop 1
	v_cndmask_b32_e32 v37, v38, v37, vcc
	v_div_scale_f32 v38, s[0:1], v37, v37, 1.0
	v_rcp_f32_e32 v39, v38
	s_nop 0
	v_fma_f32 v42, -v38, v39, 1.0
	v_fmac_f32_e32 v39, v42, v39
	v_div_scale_f32 v42, vcc, 1.0, v37, 1.0
	v_mul_f32_e32 v43, v42, v39
	v_fma_f32 v44, -v38, v43, v42
	v_fmac_f32_e32 v43, v44, v39
	v_fma_f32 v38, -v38, v43, v42
	v_div_fmas_f32 v38, v38, v39, v43
	v_div_fixup_f32 v39, v38, v37, 1.0
	v_mul_f32_e32 v38, v4, v39
                                        ; implicit-def: $vgpr37
.LBB17_80:                              ;   in Loop: Header=BB17_61 Depth=2
	s_andn2_saveexec_b64 s[86:87], s[86:87]
	s_cbranch_execz .LBB17_82
; %bb.81:                               ;   in Loop: Header=BB17_61 Depth=2
	v_div_scale_f32 v4, s[0:1], v36, v36, -v37
	v_rcp_f32_e32 v38, v4
	v_div_scale_f32 v39, vcc, -v37, v36, -v37
	v_fma_f32 v42, -v4, v38, 1.0
	v_fmac_f32_e32 v38, v42, v38
	v_mul_f32_e32 v42, v39, v38
	v_fma_f32 v43, -v4, v42, v39
	v_fmac_f32_e32 v42, v43, v38
	v_fma_f32 v4, -v4, v42, v39
	v_div_fmas_f32 v4, v4, v38, v42
	v_div_fixup_f32 v4, v4, v36, -v37
	v_fma_f32 v37, v4, v4, 1.0
	v_mul_f32_e32 v38, 0x4f800000, v37
	v_cmp_gt_f32_e32 vcc, s35, v37
	s_nop 1
	v_cndmask_b32_e32 v37, v37, v38, vcc
	v_sqrt_f32_e32 v38, v37
	s_nop 0
	v_add_u32_e32 v39, -1, v38
	v_fma_f32 v42, -v39, v38, v37
	v_cmp_ge_f32_e64 s[0:1], 0, v42
	v_add_u32_e32 v42, 1, v38
	s_nop 0
	v_cndmask_b32_e64 v39, v38, v39, s[0:1]
	v_fma_f32 v38, -v42, v38, v37
	v_cmp_lt_f32_e64 s[0:1], 0, v38
	s_nop 1
	v_cndmask_b32_e64 v38, v39, v42, s[0:1]
	v_mul_f32_e32 v39, 0x37800000, v38
	v_cndmask_b32_e32 v38, v38, v39, vcc
	v_cmp_class_f32_e32 vcc, v37, v1
	s_nop 1
	v_cndmask_b32_e32 v37, v38, v37, vcc
	v_div_scale_f32 v38, s[0:1], v37, v37, 1.0
	v_rcp_f32_e32 v39, v38
	s_nop 0
	v_fma_f32 v42, -v38, v39, 1.0
	v_fmac_f32_e32 v39, v42, v39
	v_div_scale_f32 v42, vcc, 1.0, v37, 1.0
	v_mul_f32_e32 v43, v42, v39
	v_fma_f32 v44, -v38, v43, v42
	v_fmac_f32_e32 v43, v44, v39
	v_fma_f32 v38, -v38, v43, v42
	v_div_fmas_f32 v38, v38, v39, v43
	v_div_fixup_f32 v38, v38, v37, 1.0
	v_mul_f32_e32 v39, v4, v38
.LBB17_82:                              ;   in Loop: Header=BB17_61 Depth=2
	s_or_b64 exec, exec, s[86:87]
.LBB17_83:                              ;   in Loop: Header=BB17_61 Depth=2
	s_or_b64 exec, exec, s[84:85]
.LBB17_84:                              ;   in Loop: Header=BB17_61 Depth=2
	s_or_b64 exec, exec, s[82:83]
	global_load_dword v4, v[40:41], off offset:-4
	v_add_u32_e32 v42, -1, v32
	v_lshl_add_u64 v[44:45], v[32:33], 2, s[46:47]
	v_lshl_add_u64 v[52:53], v[44:45], 0, -4
	v_cmp_gt_i32_e32 vcc, v42, v28
	v_lshl_add_u64 v[52:53], s[10:11], 2, v[52:53]
	s_waitcnt vmcnt(0)
	v_sub_f32_e32 v4, v4, v29
	v_pk_mul_f32 v[54:55], v[38:39], v[4:5]
	s_nop 0
	v_fma_f32 v33, v36, v55, -v54
	v_mul_f32_e64 v4, v33, -v38
	v_fma_f32 v29, v33, -v38, v29
	v_fma_f32 v37, v39, v33, -v36
	ds_write_b32 v46, v4 offset:8
	global_store_dword v[40:41], v29, off
	global_store_dword v[44:45], v39, off offset:-4
	global_store_dword v[52:53], v38, off offset:-4
	s_and_saveexec_b64 s[82:83], vcc
	s_cbranch_execz .LBB17_101
; %bb.85:                               ;   in Loop: Header=BB17_61 Depth=2
	v_ashrrev_i32_e32 v43, 31, v42
	v_xor_b32_e32 v33, 0x80000000, v38
	v_lshlrev_b64 v[40:41], 2, v[42:43]
	s_mov_b32 s41, -1
	s_mov_b64 s[84:85], 0
	s_mov_b64 s[86:87], s[58:59]
	;; [unrolled: 1-line block ×5, first 2 shown]
	s_branch .LBB17_87
.LBB17_86:                              ;   in Loop: Header=BB17_87 Depth=3
	v_lshl_add_u64 v[42:43], s[88:89], 0, v[40:41]
	global_load_dwordx2 v[36:37], v[42:43], off offset:-4
	v_lshl_add_u64 v[52:53], s[92:93], 0, v[40:41]
	s_add_u32 s92, s92, -4
	s_addc_u32 s93, s93, -1
	v_mul_f32_e32 v29, v39, v29
	v_lshl_add_u64 v[38:39], s[90:91], 0, v[40:41]
	s_add_u32 s90, s90, -4
	s_addc_u32 s91, s91, -1
	s_add_i32 s41, s41, -1
	v_add_u32_e32 v51, s41, v32
	v_cmp_le_i32_e32 vcc, v51, v28
	s_add_u32 s88, s88, -4
	s_addc_u32 s89, s89, -1
	s_add_u32 s86, s86, -4
	s_addc_u32 s87, s87, -1
	v_xor_b32_e32 v33, 0x80000000, v44
	s_or_b64 s[84:85], vcc, s[84:85]
	s_waitcnt vmcnt(0)
	v_sub_f32_e32 v51, v37, v4
	v_sub_f32_e32 v4, v36, v51
	v_pk_mul_f32 v[36:37], v[44:45], v[4:5]
	s_nop 0
	v_fma_f32 v36, v29, v37, -v36
	v_fma_f32 v51, v36, -v44, v51
	v_mul_f32_e64 v4, v36, -v44
	v_fma_f32 v37, v45, v36, -v29
	global_store_dword v[42:43], v51, off
	global_store_dword v[38:39], v45, off
	;; [unrolled: 1-line block ×3, first 2 shown]
	v_mov_b32_e32 v39, v45
	s_andn2_b64 exec, exec, s[84:85]
	s_cbranch_execz .LBB17_100
.LBB17_87:                              ;   Parent Loop BB17_7 Depth=1
                                        ;     Parent Loop BB17_61 Depth=2
                                        ; =>    This Inner Loop Header: Depth=3
	v_lshl_add_u64 v[42:43], s[86:87], 0, v[40:41]
	global_load_dword v29, v[42:43], off
	v_mov_b32_e32 v44, 0
	v_mov_b32_e32 v45, 1.0
	s_waitcnt vmcnt(0)
	v_mul_f32_e32 v36, v33, v29
	v_cmp_neq_f32_e32 vcc, 0, v36
	s_and_saveexec_b64 s[94:95], vcc
	s_cbranch_execz .LBB17_97
; %bb.88:                               ;   in Loop: Header=BB17_87 Depth=3
	v_cmp_neq_f32_e32 vcc, 0, v37
	v_xor_b32_e32 v33, 0x80000000, v36
                                        ; implicit-def: $vgpr45
	s_and_saveexec_b64 s[0:1], vcc
	s_xor_b64 s[96:97], exec, s[0:1]
	s_cbranch_execz .LBB17_94
; %bb.89:                               ;   in Loop: Header=BB17_87 Depth=3
	v_cmp_ngt_f32_e64 s[0:1], |v36|, |v37|
                                        ; implicit-def: $vgpr45
	s_and_saveexec_b64 s[98:99], s[0:1]
	s_xor_b64 s[98:99], exec, s[98:99]
	s_cbranch_execz .LBB17_91
; %bb.90:                               ;   in Loop: Header=BB17_87 Depth=3
	v_div_scale_f32 v33, s[0:1], v37, v37, -v36
	v_rcp_f32_e32 v38, v33
	v_div_scale_f32 v44, vcc, -v36, v37, -v36
	v_fma_f32 v45, -v33, v38, 1.0
	v_fmac_f32_e32 v38, v45, v38
	v_mul_f32_e32 v45, v44, v38
	v_fma_f32 v51, -v33, v45, v44
	v_fmac_f32_e32 v45, v51, v38
	v_fma_f32 v33, -v33, v45, v44
	v_div_fmas_f32 v33, v33, v38, v45
	v_div_fixup_f32 v33, v33, v37, -v36
	v_fma_f32 v38, v33, v33, 1.0
	v_mul_f32_e32 v44, 0x4f800000, v38
	v_cmp_gt_f32_e32 vcc, s35, v38
	s_nop 1
	v_cndmask_b32_e32 v38, v38, v44, vcc
	v_sqrt_f32_e32 v44, v38
	s_nop 0
	v_add_u32_e32 v45, -1, v44
	v_fma_f32 v52, -v45, v44, v38
	v_add_u32_e32 v51, 1, v44
	v_cmp_ge_f32_e64 s[0:1], 0, v52
	s_nop 1
	v_cndmask_b32_e64 v45, v44, v45, s[0:1]
	v_fma_f32 v44, -v51, v44, v38
	v_cmp_lt_f32_e64 s[0:1], 0, v44
	s_nop 1
	v_cndmask_b32_e64 v44, v45, v51, s[0:1]
	v_mul_f32_e32 v45, 0x37800000, v44
	v_cndmask_b32_e32 v44, v44, v45, vcc
	v_cmp_class_f32_e32 vcc, v38, v1
	s_nop 1
	v_cndmask_b32_e32 v38, v44, v38, vcc
	v_div_scale_f32 v44, s[0:1], v38, v38, 1.0
	v_rcp_f32_e32 v45, v44
	s_nop 0
	v_fma_f32 v51, -v44, v45, 1.0
	v_fmac_f32_e32 v45, v51, v45
	v_div_scale_f32 v51, vcc, 1.0, v38, 1.0
	v_mul_f32_e32 v52, v51, v45
	v_fma_f32 v53, -v44, v52, v51
	v_fmac_f32_e32 v52, v53, v45
	v_fma_f32 v44, -v44, v52, v51
	v_div_fmas_f32 v44, v44, v45, v52
	v_div_fixup_f32 v45, v44, v38, 1.0
	v_mul_f32_e32 v44, v33, v45
.LBB17_91:                              ;   in Loop: Header=BB17_87 Depth=3
	s_andn2_saveexec_b64 s[98:99], s[98:99]
	s_cbranch_execz .LBB17_93
; %bb.92:                               ;   in Loop: Header=BB17_87 Depth=3
	v_div_scale_f32 v33, s[0:1], v36, v36, -v37
	v_rcp_f32_e32 v38, v33
	v_div_scale_f32 v44, vcc, -v37, v36, -v37
	v_fma_f32 v45, -v33, v38, 1.0
	v_fmac_f32_e32 v38, v45, v38
	v_mul_f32_e32 v45, v44, v38
	v_fma_f32 v51, -v33, v45, v44
	v_fmac_f32_e32 v45, v51, v38
	v_fma_f32 v33, -v33, v45, v44
	v_div_fmas_f32 v33, v33, v38, v45
	v_div_fixup_f32 v33, v33, v36, -v37
	v_fma_f32 v38, v33, v33, 1.0
	v_mul_f32_e32 v44, 0x4f800000, v38
	v_cmp_gt_f32_e32 vcc, s35, v38
	s_nop 1
	v_cndmask_b32_e32 v38, v38, v44, vcc
	v_sqrt_f32_e32 v44, v38
	s_nop 0
	v_add_u32_e32 v45, -1, v44
	v_fma_f32 v52, -v45, v44, v38
	v_add_u32_e32 v51, 1, v44
	v_cmp_ge_f32_e64 s[0:1], 0, v52
	s_nop 1
	v_cndmask_b32_e64 v45, v44, v45, s[0:1]
	v_fma_f32 v44, -v51, v44, v38
	v_cmp_lt_f32_e64 s[0:1], 0, v44
	s_nop 1
	v_cndmask_b32_e64 v44, v45, v51, s[0:1]
	v_mul_f32_e32 v45, 0x37800000, v44
	v_cndmask_b32_e32 v44, v44, v45, vcc
	v_cmp_class_f32_e32 vcc, v38, v1
	s_nop 1
	v_cndmask_b32_e32 v38, v44, v38, vcc
	v_div_scale_f32 v44, s[0:1], v38, v38, 1.0
	v_rcp_f32_e32 v45, v44
	s_nop 0
	v_fma_f32 v51, -v44, v45, 1.0
	v_fmac_f32_e32 v45, v51, v45
	v_div_scale_f32 v51, vcc, 1.0, v38, 1.0
	v_mul_f32_e32 v52, v51, v45
	v_fma_f32 v53, -v44, v52, v51
	v_fmac_f32_e32 v52, v53, v45
	v_fma_f32 v44, -v44, v52, v51
	v_div_fmas_f32 v44, v44, v45, v52
	v_div_fixup_f32 v44, v44, v38, 1.0
	v_mul_f32_e32 v45, v33, v44
.LBB17_93:                              ;   in Loop: Header=BB17_87 Depth=3
	s_or_b64 exec, exec, s[98:99]
	v_pk_mul_f32 v[36:37], v[36:37], v[44:45]
	s_nop 0
	v_sub_f32_e32 v33, v37, v36
.LBB17_94:                              ;   in Loop: Header=BB17_87 Depth=3
	s_andn2_saveexec_b64 s[0:1], s[96:97]
; %bb.95:                               ;   in Loop: Header=BB17_87 Depth=3
	v_mov_b32_e32 v44, 1.0
	v_mov_b32_e32 v45, 0
; %bb.96:                               ;   in Loop: Header=BB17_87 Depth=3
	s_or_b64 exec, exec, s[0:1]
	v_mov_b32_e32 v37, v33
.LBB17_97:                              ;   in Loop: Header=BB17_87 Depth=3
	s_or_b64 exec, exec, s[94:95]
	s_cmp_eq_u32 s41, 0
	s_cbranch_scc1 .LBB17_86
; %bb.98:                               ;   in Loop: Header=BB17_87 Depth=3
	global_store_dword v[42:43], v37, off offset:4
	s_branch .LBB17_86
.LBB17_99:                              ;   in Loop: Header=BB17_61 Depth=2
	ds_write2_b32 v46, v32, v28 offset0:1 offset1:4
	s_cbranch_execz .LBB17_72
	s_branch .LBB17_73
.LBB17_100:                             ;   in Loop: Header=BB17_61 Depth=2
	s_or_b64 exec, exec, s[84:85]
	s_mov_b32 s92, 0x667f3bcd
	s_mov_b32 s94, 0.5
	s_mov_b32 s93, 0x3ff6a09e
	s_mov_b32 s95, -0.5
	ds_write_b32 v46, v4 offset:8
.LBB17_101:                             ;   in Loop: Header=BB17_61 Depth=2
	s_or_b64 exec, exec, s[82:83]
	global_load_dword v36, v[30:31], off
.LBB17_102:                             ;   in Loop: Header=BB17_61 Depth=2
	s_or_b64 exec, exec, s[80:81]
	s_waitcnt vmcnt(0)
	v_sub_f32_e32 v4, v36, v4
	global_store_dword v[30:31], v4, off
	global_store_dword v[34:35], v37, off
                                        ; implicit-def: $vgpr34_vgpr35
                                        ; implicit-def: $vgpr30_vgpr31
                                        ; implicit-def: $vgpr28
                                        ; implicit-def: $vgpr36
.LBB17_103:                             ;   in Loop: Header=BB17_61 Depth=2
	s_andn2_saveexec_b64 s[80:81], s[6:7]
	s_cbranch_execz .LBB17_136
; %bb.104:                              ;   in Loop: Header=BB17_61 Depth=2
	v_lshl_add_u64 v[32:33], v[34:35], 2, s[44:45]
	global_load_dword v37, v[30:31], off offset:4
	global_load_dword v39, v[32:33], off
                                        ; implicit-def: $vgpr4
	s_waitcnt vmcnt(1)
	v_sub_f32_e32 v38, v36, v37
	s_waitcnt vmcnt(0)
	v_add_f32_e32 v29, v39, v39
	v_and_b32_e32 v40, 0x7fffffff, v29
	v_cmp_ngt_f32_e64 s[0:1], |v38|, |v29|
	s_and_saveexec_b64 s[6:7], s[0:1]
	s_xor_b64 s[6:7], exec, s[6:7]
	s_cbranch_execz .LBB17_110
; %bb.105:                              ;   in Loop: Header=BB17_61 Depth=2
	v_cmp_nlt_f32_e64 s[0:1], |v38|, |v29|
                                        ; implicit-def: $vgpr4
	s_and_saveexec_b64 s[82:83], s[0:1]
	s_xor_b64 s[0:1], exec, s[82:83]
; %bb.106:                              ;   in Loop: Header=BB17_61 Depth=2
	v_cvt_f64_f32_e32 v[40:41], v40
	v_mul_f64 v[40:41], v[40:41], s[92:93]
	v_cvt_f32_f64_e32 v4, v[40:41]
                                        ; implicit-def: $vgpr40
; %bb.107:                              ;   in Loop: Header=BB17_61 Depth=2
	s_andn2_saveexec_b64 s[82:83], s[0:1]
	s_cbranch_execz .LBB17_109
; %bb.108:                              ;   in Loop: Header=BB17_61 Depth=2
	v_and_b32_e32 v4, 0x7fffffff, v38
	v_div_scale_f32 v41, s[0:1], v40, v40, v4
	v_rcp_f32_e32 v42, v41
	v_div_scale_f32 v4, vcc, v4, v40, v4
	v_fma_f32 v40, -v41, v42, 1.0
	v_fmac_f32_e32 v42, v40, v42
	v_mul_f32_e32 v40, v4, v42
	v_fma_f32 v43, -v41, v40, v4
	v_fmac_f32_e32 v40, v43, v42
	v_fma_f32 v4, -v41, v40, v4
	v_div_fmas_f32 v4, v4, v42, v40
	v_div_fixup_f32 v4, v4, |v29|, |v38|
	v_fma_f32 v4, v4, v4, 1.0
	v_mul_f32_e32 v40, 0x4f800000, v4
	v_cmp_gt_f32_e32 vcc, s35, v4
	s_nop 1
	v_cndmask_b32_e32 v4, v4, v40, vcc
	v_sqrt_f32_e32 v40, v4
	s_nop 0
	v_add_u32_e32 v41, -1, v40
	v_fma_f32 v42, -v41, v40, v4
	v_cmp_ge_f32_e64 s[0:1], 0, v42
	v_add_u32_e32 v42, 1, v40
	s_nop 0
	v_cndmask_b32_e64 v41, v40, v41, s[0:1]
	v_fma_f32 v40, -v42, v40, v4
	v_cmp_lt_f32_e64 s[0:1], 0, v40
	s_nop 1
	v_cndmask_b32_e64 v40, v41, v42, s[0:1]
	v_mul_f32_e32 v41, 0x37800000, v40
	v_cndmask_b32_e32 v40, v40, v41, vcc
	v_cmp_class_f32_e32 vcc, v4, v1
	s_nop 1
	v_cndmask_b32_e32 v4, v40, v4, vcc
	v_mul_f32_e64 v4, |v29|, v4
.LBB17_109:                             ;   in Loop: Header=BB17_61 Depth=2
	s_or_b64 exec, exec, s[82:83]
                                        ; implicit-def: $vgpr40
.LBB17_110:                             ;   in Loop: Header=BB17_61 Depth=2
	s_andn2_saveexec_b64 s[6:7], s[6:7]
	s_cbranch_execz .LBB17_112
; %bb.111:                              ;   in Loop: Header=BB17_61 Depth=2
	v_and_b32_e32 v4, 0x7fffffff, v38
	v_div_scale_f32 v41, s[0:1], v4, v4, v40
	v_rcp_f32_e32 v42, v41
	v_div_scale_f32 v4, vcc, v40, v4, v40
	v_fma_f32 v40, -v41, v42, 1.0
	v_fmac_f32_e32 v42, v40, v42
	v_mul_f32_e32 v40, v4, v42
	v_fma_f32 v43, -v41, v40, v4
	v_fmac_f32_e32 v40, v43, v42
	v_fma_f32 v4, -v41, v40, v4
	v_div_fmas_f32 v4, v4, v42, v40
	v_div_fixup_f32 v4, v4, |v38|, |v29|
	v_fma_f32 v4, v4, v4, 1.0
	v_mul_f32_e32 v40, 0x4f800000, v4
	v_cmp_gt_f32_e32 vcc, s35, v4
	s_nop 1
	v_cndmask_b32_e32 v4, v4, v40, vcc
	v_sqrt_f32_e32 v40, v4
	s_nop 0
	v_add_u32_e32 v41, -1, v40
	v_fma_f32 v42, -v41, v40, v4
	v_cmp_ge_f32_e64 s[0:1], 0, v42
	v_add_u32_e32 v42, 1, v40
	s_nop 0
	v_cndmask_b32_e64 v41, v40, v41, s[0:1]
	v_fma_f32 v40, -v42, v40, v4
	v_cmp_lt_f32_e64 s[0:1], 0, v40
	s_nop 1
	v_cndmask_b32_e64 v40, v41, v42, s[0:1]
	v_mul_f32_e32 v41, 0x37800000, v40
	v_cndmask_b32_e32 v40, v40, v41, vcc
	v_cmp_class_f32_e32 vcc, v4, v1
	s_nop 1
	v_cndmask_b32_e32 v4, v40, v4, vcc
	v_mul_f32_e64 v4, |v38|, v4
.LBB17_112:                             ;   in Loop: Header=BB17_61 Depth=2
	s_or_b64 exec, exec, s[6:7]
	v_add_f32_e32 v42, v36, v37
	v_cmp_gt_f32_e64 vcc, |v36|, |v37|
	s_nop 1
	v_cndmask_b32_e32 v41, v36, v37, vcc
	v_cndmask_b32_e32 v43, v37, v36, vcc
	v_cmp_ngt_f32_e32 vcc, 0, v42
                                        ; implicit-def: $vgpr36_vgpr37
	s_and_saveexec_b64 s[0:1], vcc
	s_xor_b64 s[0:1], exec, s[0:1]
	s_cbranch_execz .LBB17_118
; %bb.113:                              ;   in Loop: Header=BB17_61 Depth=2
	v_cmp_nlt_f32_e32 vcc, 0, v42
                                        ; implicit-def: $vgpr36_vgpr37
	s_and_saveexec_b64 s[6:7], vcc
	s_xor_b64 s[6:7], exec, s[6:7]
; %bb.114:                              ;   in Loop: Header=BB17_61 Depth=2
	v_pk_mul_f32 v[36:37], v[4:5], s[94:95] op_sel_hi:[0,1]
                                        ; implicit-def: $vgpr42
                                        ; implicit-def: $vgpr43
                                        ; implicit-def: $vgpr41
                                        ; implicit-def: $vgpr39
; %bb.115:                              ;   in Loop: Header=BB17_61 Depth=2
	s_andn2_saveexec_b64 s[6:7], s[6:7]
	s_cbranch_execz .LBB17_117
; %bb.116:                              ;   in Loop: Header=BB17_61 Depth=2
	v_add_f32_e32 v36, v42, v4
	v_mul_f32_e32 v36, 0.5, v36
	v_cvt_f64_f32_e32 v[42:43], v43
	v_cvt_f64_f32_e32 v[44:45], v36
	v_div_scale_f64 v[52:53], s[82:83], v[44:45], v[44:45], v[42:43]
	v_rcp_f64_e32 v[54:55], v[52:53]
	v_cvt_f64_f32_e32 v[40:41], v41
	v_fma_f64 v[56:57], -v[52:53], v[54:55], 1.0
	v_fmac_f64_e32 v[54:55], v[54:55], v[56:57]
	v_fma_f64 v[56:57], -v[52:53], v[54:55], 1.0
	v_fmac_f64_e32 v[54:55], v[54:55], v[56:57]
	v_div_scale_f64 v[56:57], vcc, v[42:43], v[44:45], v[42:43]
	v_mul_f64 v[58:59], v[56:57], v[54:55]
	v_fma_f64 v[52:53], -v[52:53], v[58:59], v[56:57]
	v_cvt_f64_f32_e32 v[56:57], v39
	v_div_scale_f64 v[60:61], s[82:83], v[44:45], v[44:45], v[56:57]
	v_rcp_f64_e32 v[62:63], v[60:61]
	v_div_fmas_f64 v[52:53], v[52:53], v[54:55], v[58:59]
	v_div_fixup_f64 v[42:43], v[52:53], v[44:45], v[42:43]
	v_fma_f64 v[52:53], -v[60:61], v[62:63], 1.0
	v_fmac_f64_e32 v[62:63], v[62:63], v[52:53]
	v_fma_f64 v[52:53], -v[60:61], v[62:63], 1.0
	v_fmac_f64_e32 v[62:63], v[62:63], v[52:53]
	v_div_scale_f64 v[52:53], vcc, v[56:57], v[44:45], v[56:57]
	v_mul_f64 v[54:55], v[52:53], v[62:63]
	v_fma_f64 v[52:53], -v[60:61], v[54:55], v[52:53]
	s_nop 1
	v_div_fmas_f64 v[52:53], v[52:53], v[62:63], v[54:55]
	v_div_fixup_f64 v[44:45], v[52:53], v[44:45], v[56:57]
	v_mul_f64 v[44:45], v[44:45], v[56:57]
	v_fma_f64 v[40:41], v[42:43], v[40:41], -v[44:45]
	v_cvt_f32_f64_e32 v37, v[40:41]
.LBB17_117:                             ;   in Loop: Header=BB17_61 Depth=2
	s_or_b64 exec, exec, s[6:7]
                                        ; implicit-def: $vgpr42
                                        ; implicit-def: $vgpr43
                                        ; implicit-def: $vgpr41
                                        ; implicit-def: $vgpr39
.LBB17_118:                             ;   in Loop: Header=BB17_61 Depth=2
	s_or_saveexec_b64 s[0:1], s[0:1]
	v_mov_b32_e32 v40, 1
	s_xor_b64 exec, exec, s[0:1]
	s_cbranch_execz .LBB17_120
; %bb.119:                              ;   in Loop: Header=BB17_61 Depth=2
	v_sub_f32_e32 v36, v42, v4
	v_mul_f32_e32 v36, 0.5, v36
	v_cvt_f64_f32_e32 v[42:43], v43
	v_cvt_f64_f32_e32 v[44:45], v36
	v_div_scale_f64 v[52:53], s[6:7], v[44:45], v[44:45], v[42:43]
	v_rcp_f64_e32 v[54:55], v[52:53]
	v_cvt_f64_f32_e32 v[40:41], v41
	v_fma_f64 v[56:57], -v[52:53], v[54:55], 1.0
	v_fmac_f64_e32 v[54:55], v[54:55], v[56:57]
	v_fma_f64 v[56:57], -v[52:53], v[54:55], 1.0
	v_fmac_f64_e32 v[54:55], v[54:55], v[56:57]
	v_div_scale_f64 v[56:57], vcc, v[42:43], v[44:45], v[42:43]
	v_mul_f64 v[58:59], v[56:57], v[54:55]
	v_fma_f64 v[52:53], -v[52:53], v[58:59], v[56:57]
	v_cvt_f64_f32_e32 v[56:57], v39
	v_div_scale_f64 v[60:61], s[6:7], v[44:45], v[44:45], v[56:57]
	v_rcp_f64_e32 v[62:63], v[60:61]
	v_div_fmas_f64 v[52:53], v[52:53], v[54:55], v[58:59]
	v_div_fixup_f64 v[42:43], v[52:53], v[44:45], v[42:43]
	v_fma_f64 v[52:53], -v[60:61], v[62:63], 1.0
	v_fmac_f64_e32 v[62:63], v[62:63], v[52:53]
	v_fma_f64 v[52:53], -v[60:61], v[62:63], 1.0
	v_fmac_f64_e32 v[62:63], v[62:63], v[52:53]
	v_div_scale_f64 v[52:53], vcc, v[56:57], v[44:45], v[56:57]
	v_mul_f64 v[54:55], v[52:53], v[62:63]
	v_fma_f64 v[52:53], -v[60:61], v[54:55], v[52:53]
	s_nop 1
	v_div_fmas_f64 v[52:53], v[52:53], v[62:63], v[54:55]
	v_div_fixup_f64 v[44:45], v[52:53], v[44:45], v[56:57]
	v_mul_f64 v[44:45], v[44:45], v[56:57]
	v_fma_f64 v[40:41], v[42:43], v[40:41], -v[44:45]
	v_cvt_f32_f64_e32 v37, v[40:41]
	v_mov_b32_e32 v40, -1
.LBB17_120:                             ;   in Loop: Header=BB17_61 Depth=2
	s_or_b64 exec, exec, s[0:1]
	v_cmp_nle_f32_e64 s[6:7], 0, v38
                                        ; implicit-def: $vgpr39
	s_nop 1
	v_cndmask_b32_e64 v4, v4, -v4, s[6:7]
	v_add_f32_e32 v4, v38, v4
	v_cmp_ngt_f32_e64 s[0:1], |v4|, |v29|
                                        ; implicit-def: $vgpr38
	s_and_saveexec_b64 s[82:83], s[0:1]
	s_xor_b64 s[82:83], exec, s[82:83]
	s_cbranch_execz .LBB17_124
; %bb.121:                              ;   in Loop: Header=BB17_61 Depth=2
	v_mov_b32_e32 v38, 0
	v_cmp_neq_f32_e32 vcc, 0, v29
	v_mov_b32_e32 v39, 1.0
	s_and_saveexec_b64 s[84:85], vcc
	s_cbranch_execz .LBB17_123
; %bb.122:                              ;   in Loop: Header=BB17_61 Depth=2
	v_div_scale_f32 v38, s[0:1], v29, v29, -v4
	v_rcp_f32_e32 v39, v38
	v_div_scale_f32 v41, vcc, -v4, v29, -v4
	v_fma_f32 v42, -v38, v39, 1.0
	v_fmac_f32_e32 v39, v42, v39
	v_mul_f32_e32 v42, v41, v39
	v_fma_f32 v43, -v38, v42, v41
	v_fmac_f32_e32 v42, v43, v39
	v_fma_f32 v38, -v38, v42, v41
	v_div_fmas_f32 v38, v38, v39, v42
	v_div_fixup_f32 v4, v38, v29, -v4
	v_fma_f32 v29, v4, v4, 1.0
	v_mul_f32_e32 v38, 0x4f800000, v29
	v_cmp_gt_f32_e32 vcc, s35, v29
	s_nop 1
	v_cndmask_b32_e32 v29, v29, v38, vcc
	v_sqrt_f32_e32 v38, v29
	s_nop 0
	v_add_u32_e32 v39, -1, v38
	v_fma_f32 v41, -v39, v38, v29
	v_cmp_ge_f32_e64 s[0:1], 0, v41
	v_add_u32_e32 v41, 1, v38
	s_nop 0
	v_cndmask_b32_e64 v39, v38, v39, s[0:1]
	v_fma_f32 v38, -v41, v38, v29
	v_cmp_lt_f32_e64 s[0:1], 0, v38
	s_nop 1
	v_cndmask_b32_e64 v38, v39, v41, s[0:1]
	v_mul_f32_e32 v39, 0x37800000, v38
	v_cndmask_b32_e32 v38, v38, v39, vcc
	v_cmp_class_f32_e32 vcc, v29, v1
	s_nop 1
	v_cndmask_b32_e32 v29, v38, v29, vcc
	v_div_scale_f32 v38, s[0:1], v29, v29, 1.0
	v_rcp_f32_e32 v39, v38
	s_nop 0
	v_fma_f32 v41, -v38, v39, 1.0
	v_fmac_f32_e32 v39, v41, v39
	v_div_scale_f32 v41, vcc, 1.0, v29, 1.0
	v_mul_f32_e32 v42, v41, v39
	v_fma_f32 v43, -v38, v42, v41
	v_fmac_f32_e32 v42, v43, v39
	v_fma_f32 v38, -v38, v42, v41
	v_div_fmas_f32 v38, v38, v39, v42
	v_div_fixup_f32 v39, v38, v29, 1.0
	v_mul_f32_e32 v38, v4, v39
.LBB17_123:                             ;   in Loop: Header=BB17_61 Depth=2
	s_or_b64 exec, exec, s[84:85]
                                        ; implicit-def: $vgpr4
                                        ; implicit-def: $vgpr29
.LBB17_124:                             ;   in Loop: Header=BB17_61 Depth=2
	s_andn2_saveexec_b64 s[82:83], s[82:83]
	s_cbranch_execz .LBB17_126
; %bb.125:                              ;   in Loop: Header=BB17_61 Depth=2
	v_div_scale_f32 v38, s[0:1], v4, v4, -v29
	v_rcp_f32_e32 v39, v38
	v_div_scale_f32 v41, vcc, -v29, v4, -v29
	v_fma_f32 v42, -v38, v39, 1.0
	v_fmac_f32_e32 v39, v42, v39
	v_mul_f32_e32 v42, v41, v39
	v_fma_f32 v43, -v38, v42, v41
	v_fmac_f32_e32 v42, v43, v39
	v_fma_f32 v38, -v38, v42, v41
	v_div_fmas_f32 v38, v38, v39, v42
	v_div_fixup_f32 v4, v38, v4, -v29
	v_fma_f32 v29, v4, v4, 1.0
	v_mul_f32_e32 v38, 0x4f800000, v29
	v_cmp_gt_f32_e32 vcc, s35, v29
	s_nop 1
	v_cndmask_b32_e32 v29, v29, v38, vcc
	v_sqrt_f32_e32 v38, v29
	s_nop 0
	v_add_u32_e32 v39, -1, v38
	v_fma_f32 v41, -v39, v38, v29
	v_cmp_ge_f32_e64 s[0:1], 0, v41
	v_add_u32_e32 v41, 1, v38
	s_nop 0
	v_cndmask_b32_e64 v39, v38, v39, s[0:1]
	v_fma_f32 v38, -v41, v38, v29
	v_cmp_lt_f32_e64 s[0:1], 0, v38
	s_nop 1
	v_cndmask_b32_e64 v38, v39, v41, s[0:1]
	v_mul_f32_e32 v39, 0x37800000, v38
	v_cndmask_b32_e32 v38, v38, v39, vcc
	v_cmp_class_f32_e32 vcc, v29, v1
	s_nop 1
	v_cndmask_b32_e32 v29, v38, v29, vcc
	v_div_scale_f32 v38, s[0:1], v29, v29, 1.0
	v_rcp_f32_e32 v39, v38
	s_nop 0
	v_fma_f32 v41, -v38, v39, 1.0
	v_fmac_f32_e32 v39, v41, v39
	v_div_scale_f32 v41, vcc, 1.0, v29, 1.0
	v_mul_f32_e32 v42, v41, v39
	v_fma_f32 v43, -v38, v42, v41
	v_fmac_f32_e32 v42, v43, v39
	v_fma_f32 v38, -v38, v42, v41
	v_div_fmas_f32 v38, v38, v39, v42
	v_div_fixup_f32 v38, v38, v29, 1.0
	v_mul_f32_e32 v39, v4, v38
.LBB17_126:                             ;   in Loop: Header=BB17_61 Depth=2
	s_or_b64 exec, exec, s[82:83]
	v_cndmask_b32_e64 v4, 1, -1, s[6:7]
	v_cmp_eq_u32_e32 vcc, v40, v4
	v_lshl_add_u64 v[34:35], v[34:35], 2, s[46:47]
	s_nop 0
	v_cndmask_b32_e64 v29, v39, -v38, vcc
	v_cndmask_b32_e32 v4, v38, v39, vcc
	global_store_dword v[34:35], v29, off
	v_lshl_add_u64 v[34:35], s[10:11], 2, v[34:35]
	global_store_dword v[34:35], v4, off offset:-4
	global_store_dwordx2 v[30:31], v[36:37], off
	global_store_dword v[32:33], v46, off
	v_add_u32_e32 v4, 2, v28
	ds_write_b32 v46, v4
	s_or_b64 exec, exec, s[80:81]
                                        ; implicit-def: $vgpr4
.LBB17_127:                             ;   in Loop: Header=BB17_61 Depth=2
	s_andn2_saveexec_b64 s[0:1], s[78:79]
.LBB17_128:                             ;   in Loop: Header=BB17_61 Depth=2
	ds_write_b32 v46, v4
.LBB17_129:                             ;   in Loop: Header=BB17_61 Depth=2
	s_or_b64 exec, exec, s[0:1]
.LBB17_130:                             ;   in Loop: Header=BB17_61 Depth=2
	s_or_b64 exec, exec, s[76:77]
	s_waitcnt lgkmcnt(0)
	s_barrier
	ds_read_b64 v[28:29], v46
	s_waitcnt lgkmcnt(0)
	v_readfirstlane_b32 s41, v29
	s_nop 1
	v_cmp_eq_u32_e32 vcc, s41, v28
	v_mov_b32_e32 v28, s41
	s_cbranch_vccnz .LBB17_60
; %bb.131:                              ;   in Loop: Header=BB17_61 Depth=2
	s_and_saveexec_b64 s[0:1], s[2:3]
	s_cbranch_execz .LBB17_59
; %bb.132:                              ;   in Loop: Header=BB17_61 Depth=2
	ds_read_b32 v28, v46 offset:16
	v_mov_b32_e32 v32, v0
	s_waitcnt lgkmcnt(0)
	v_readfirstlane_b32 s70, v28
	s_mul_i32 s6, s70, s15
	s_ashr_i32 s7, s6, 31
	s_lshl_b64 s[80:81], s[6:7], 3
	s_add_u32 s6, s14, s80
	s_addc_u32 s7, s33, s81
	s_sub_i32 s41, s41, s70
	s_mul_hi_i32 s77, s41, s48
	s_mul_i32 s76, s41, s48
	s_lshl_b64 s[76:77], s[76:77], 3
	s_add_u32 s76, s6, s76
	s_addc_u32 s77, s7, s77
	s_cmp_gt_i32 s41, 0
	v_ashrrev_i32_e32 v29, 31, v28
	s_cselect_b64 s[78:79], -1, 0
	s_add_i32 s70, s41, -1
	v_lshlrev_b64 v[28:29], 2, v[28:29]
	s_lshl_b64 s[82:83], s[70:71], 2
	v_lshl_add_u64 v[28:29], v[28:29], 0, s[82:83]
	s_mul_i32 s75, s63, s70
	s_mul_hi_u32 s82, s62, s70
	s_add_i32 s82, s82, s75
	s_mul_i32 s70, s62, s70
	s_add_u32 s80, s70, s80
	s_addc_u32 s81, s82, s81
	v_lshl_add_u64 v[28:29], s[46:47], 0, v[28:29]
	v_lshl_add_u64 v[30:31], v[2:3], 0, s[80:81]
	s_mov_b64 s[80:81], 0
	s_branch .LBB17_134
.LBB17_133:                             ;   in Loop: Header=BB17_134 Depth=3
	v_add_u32_e32 v32, s34, v32
	v_cmp_le_i32_e32 vcc, s10, v32
	s_or_b64 s[80:81], vcc, s[80:81]
	v_lshl_add_u64 v[30:31], v[30:31], 0, s[64:65]
	s_waitcnt vmcnt(0)
	global_store_dwordx2 v[36:37], v[34:35], off
	s_andn2_b64 exec, exec, s[80:81]
	s_cbranch_execz .LBB17_59
.LBB17_134:                             ;   Parent Loop BB17_7 Depth=1
                                        ;     Parent Loop BB17_61 Depth=2
                                        ; =>    This Loop Header: Depth=3
                                        ;         Child Loop BB17_135 Depth 4
	v_ashrrev_i32_e32 v33, 31, v32
	v_lshlrev_b64 v[36:37], 3, v[32:33]
	v_lshl_add_u64 v[34:35], s[76:77], 0, v[36:37]
	global_load_dwordx2 v[34:35], v[34:35], off
	v_lshl_add_u64 v[36:37], s[6:7], 0, v[36:37]
	s_andn2_b64 vcc, exec, s[78:79]
	v_mov_b64_e32 v[38:39], v[30:31]
	v_mov_b64_e32 v[40:41], v[28:29]
	s_mov_b32 s70, s41
	s_cbranch_vccnz .LBB17_133
.LBB17_135:                             ;   Parent Loop BB17_7 Depth=1
                                        ;     Parent Loop BB17_61 Depth=2
                                        ;       Parent Loop BB17_134 Depth=3
                                        ; =>      This Inner Loop Header: Depth=4
	v_lshl_add_u64 v[42:43], v[40:41], 0, s[60:61]
	global_load_dwordx2 v[44:45], v[38:39], off
	global_load_dword v4, v[42:43], off
	s_nop 0
	global_load_dword v42, v[40:41], off
	s_mul_i32 s83, s70, s49
	s_mul_hi_u32 s84, s70, s48
	s_add_i32 s75, s70, -1
	s_mul_i32 s82, s70, s48
	s_add_i32 s83, s84, s83
	v_lshl_add_u64 v[40:41], v[40:41], 0, -4
	v_lshl_add_u64 v[38:39], v[38:39], 0, s[66:67]
	s_mov_b32 s70, s75
	v_lshl_add_u64 v[52:53], s[82:83], 3, v[36:37]
	s_cmp_eq_u32 s75, 0
	s_waitcnt vmcnt(0)
	v_pk_mul_f32 v[54:55], v[42:43], v[44:45] op_sel_hi:[0,1]
	v_pk_mul_f32 v[44:45], v[4:5], v[44:45] op_sel_hi:[0,1]
	v_pk_fma_f32 v[42:43], v[34:35], v[42:43], v[44:45] op_sel_hi:[1,0,1] neg_lo:[0,0,1] neg_hi:[0,0,1]
	v_pk_fma_f32 v[34:35], v[34:35], v[4:5], v[54:55] op_sel_hi:[1,0,1]
	global_store_dwordx2 v[52:53], v[42:43], off
	s_cbranch_scc0 .LBB17_135
	s_branch .LBB17_133
.LBB17_136:                             ;   in Loop: Header=BB17_61 Depth=2
	s_or_b64 exec, exec, s[80:81]
                                        ; implicit-def: $vgpr4
	s_andn2_saveexec_b64 s[0:1], s[78:79]
	s_cbranch_execnz .LBB17_128
	s_branch .LBB17_129
.LBB17_137:                             ;   in Loop: Header=BB17_139 Depth=2
	s_or_b64 exec, exec, s[0:1]
	s_barrier
	ds_read_b32 v20, v46
.LBB17_138:                             ;   in Loop: Header=BB17_139 Depth=2
	ds_read2_b32 v[22:23], v46 offset0:5 offset1:7
	s_waitcnt lgkmcnt(0)
	v_cmp_ge_i32_e32 vcc, v20, v22
	v_cmp_gt_i32_e64 s[0:1], s28, v23
	s_and_b64 s[0:1], vcc, s[0:1]
	s_andn2_b64 vcc, exec, s[0:1]
	s_cbranch_vccnz .LBB17_216
.LBB17_139:                             ;   Parent Loop BB17_7 Depth=1
                                        ; =>  This Loop Header: Depth=2
                                        ;       Child Loop BB17_145 Depth 3
                                        ;       Child Loop BB17_165 Depth 3
	;; [unrolled: 1-line block ×3, first 2 shown]
                                        ;         Child Loop BB17_213 Depth 4
	s_and_saveexec_b64 s[6:7], s[8:9]
	s_cbranch_execz .LBB17_208
; %bb.140:                              ;   in Loop: Header=BB17_139 Depth=2
	v_cmp_gt_i32_e32 vcc, v20, v22
	s_mov_b64 s[0:1], 0
	s_cbranch_vccnz .LBB17_142
; %bb.141:                              ;   in Loop: Header=BB17_139 Depth=2
	v_ashrrev_i32_e32 v21, 31, v20
	s_mov_b64 s[4:5], -1
	v_mov_b64_e32 v[28:29], v[20:21]
	v_mov_b32_e32 v24, v20
	s_cbranch_execz .LBB17_143
	s_branch .LBB17_148
.LBB17_142:                             ;   in Loop: Header=BB17_139 Depth=2
                                        ; implicit-def: $vgpr28_vgpr29
	s_mov_b64 s[4:5], 0
	v_mov_b32_e32 v24, v20
.LBB17_143:                             ;   in Loop: Header=BB17_139 Depth=2
	v_ashrrev_i32_e32 v21, 31, v20
	v_lshlrev_b64 v[12:13], 2, v[20:21]
	v_lshl_add_u64 v[6:7], s[44:45], 0, v[12:13]
	v_lshl_add_u64 v[12:13], s[68:69], 0, v[12:13]
	v_mov_b32_e32 v4, v20
	s_branch .LBB17_145
.LBB17_144:                             ;   in Loop: Header=BB17_145 Depth=3
	v_add_u32_e32 v4, -1, v49
	v_lshl_add_u64 v[12:13], v[12:13], 0, -4
	s_mov_b64 s[0:1], 0
	v_cmp_le_i32_e64 s[4:5], v4, v22
	s_andn2_b64 vcc, exec, s[4:5]
	v_lshl_add_u64 v[6:7], v[6:7], 0, -4
	s_cbranch_vccz .LBB17_147
.LBB17_145:                             ;   Parent Loop BB17_7 Depth=1
                                        ;     Parent Loop BB17_139 Depth=2
                                        ; =>    This Inner Loop Header: Depth=3
	global_load_dword v26, v[6:7], off offset:-4
	global_load_dwordx2 v[24:25], v[12:13], off
	v_mov_b32_e32 v49, v4
	s_waitcnt vmcnt(1)
	v_mul_f32_e32 v4, v26, v26
	s_waitcnt vmcnt(0)
	v_mul_f32_e32 v24, v25, v24
	v_mul_f32_e64 v24, v47, |v24|
	v_cmp_le_f32_e64 s[0:1], |v4|, v24
	s_and_b64 vcc, exec, s[0:1]
	s_cbranch_vccz .LBB17_144
; %bb.146:                              ;   in Loop: Header=BB17_139 Depth=2
	s_mov_b64 s[0:1], -1
                                        ; implicit-def: $vgpr4
                                        ; implicit-def: $vgpr12_vgpr13
	v_lshl_add_u64 v[6:7], v[6:7], 0, -4
.LBB17_147:                             ;   in Loop: Header=BB17_139 Depth=2
	s_xor_b64 s[4:5], s[0:1], -1
	s_mov_b64 s[0:1], -1
	v_mov_b64_e32 v[12:13], v[20:21]
	v_mov_b32_e32 v24, v22
	v_mov_b64_e32 v[28:29], v[20:21]
.LBB17_148:                             ;   in Loop: Header=BB17_139 Depth=2
	s_and_b64 vcc, exec, s[4:5]
	s_cbranch_vccnz .LBB17_177
; %bb.149:                              ;   in Loop: Header=BB17_139 Depth=2
	s_andn2_b64 vcc, exec, s[0:1]
	s_cbranch_vccnz .LBB17_151
.LBB17_150:                             ;   in Loop: Header=BB17_139 Depth=2
	v_mov_b64_e32 v[28:29], v[12:13]
	v_mov_b32_e32 v24, v49
	ds_write2_b32 v46, v49, v20 offset0:1 offset1:4
	global_store_dword v[6:7], v46, off
.LBB17_151:                             ;   in Loop: Header=BB17_139 Depth=2
	v_lshl_add_u64 v[26:27], v[28:29], 2, s[22:23]
	global_load_dword v22, v[26:27], off
	v_cmp_ne_u32_e32 vcc, v24, v20
	v_add_u32_e32 v4, -1, v20
	s_waitcnt vmcnt(0)
	ds_write_b32 v46, v22 offset:8
	s_and_saveexec_b64 s[0:1], vcc
	s_xor_b64 s[76:77], exec, s[0:1]
	s_cbranch_execz .LBB17_205
; %bb.152:                              ;   in Loop: Header=BB17_139 Depth=2
	v_cmp_ne_u32_e32 vcc, v24, v4
	s_and_saveexec_b64 s[0:1], vcc
	s_xor_b64 s[4:5], exec, s[0:1]
	s_cbranch_execz .LBB17_181
; %bb.153:                              ;   in Loop: Header=BB17_139 Depth=2
	v_lshl_add_u64 v[28:29], v[28:29], 2, s[44:45]
	global_load_dword v4, v[26:27], off offset:-4
	global_load_dword v30, v[28:29], off offset:-4
	v_ashrrev_i32_e32 v25, 31, v24
	v_lshl_add_u64 v[32:33], v[24:25], 2, s[22:23]
	global_load_dword v21, v[32:33], off
	v_add_u32_e32 v23, 1, v23
	ds_write2_b32 v46, v46, v23 offset0:2 offset1:7
	s_waitcnt vmcnt(2)
	v_sub_f32_e32 v4, v4, v22
	s_waitcnt vmcnt(1)
	v_add_f32_e32 v31, v30, v30
	v_div_scale_f32 v34, s[0:1], v31, v31, v4
	v_rcp_f32_e32 v35, v34
	v_div_scale_f32 v36, vcc, v4, v31, v4
	v_fma_f32 v37, -v34, v35, 1.0
	v_fmac_f32_e32 v35, v37, v35
	v_mul_f32_e32 v37, v36, v35
	v_fma_f32 v38, -v34, v37, v36
	v_fmac_f32_e32 v37, v38, v35
	v_fma_f32 v34, -v34, v37, v36
	v_div_fmas_f32 v34, v34, v35, v37
	v_div_fixup_f32 v31, v34, v31, v4
	v_fma_f32 v4, v31, v31, 1.0
	v_mul_f32_e32 v34, 0x4f800000, v4
	v_cmp_gt_f32_e32 vcc, s35, v4
	s_nop 1
	v_cndmask_b32_e32 v34, v4, v34, vcc
	v_sqrt_f32_e32 v35, v34
	v_mov_b32_e32 v4, 0
	v_add_u32_e32 v23, -1, v35
	v_add_u32_e32 v36, 1, v35
	v_fma_f32 v37, -v23, v35, v34
	v_fma_f32 v38, -v36, v35, v34
	v_cmp_ge_f32_e64 s[0:1], 0, v37
	s_nop 1
	v_cndmask_b32_e64 v23, v35, v23, s[0:1]
	v_cmp_lt_f32_e64 s[0:1], 0, v38
	s_nop 1
	v_cndmask_b32_e64 v23, v23, v36, s[0:1]
	v_mul_f32_e32 v35, 0x37800000, v23
	v_cndmask_b32_e32 v23, v23, v35, vcc
	v_cmp_class_f32_e32 vcc, v34, v1
	s_waitcnt vmcnt(0)
	v_sub_f32_e32 v35, v21, v22
	v_cndmask_b32_e32 v23, v23, v34, vcc
	v_cmp_nle_f32_e32 vcc, 0, v31
	s_nop 1
	v_cndmask_b32_e64 v23, |v23|, -|v23|, vcc
	v_add_f32_e32 v23, v31, v23
	v_div_scale_f32 v31, s[0:1], v23, v23, v30
	v_rcp_f32_e32 v34, v31
	v_div_scale_f32 v36, vcc, v30, v23, v30
	v_fma_f32 v37, -v31, v34, 1.0
	v_fmac_f32_e32 v34, v37, v34
	v_mul_f32_e32 v37, v36, v34
	v_fma_f32 v38, -v31, v37, v36
	v_fmac_f32_e32 v37, v38, v34
	v_fma_f32 v31, -v31, v37, v36
	v_div_fmas_f32 v31, v31, v34, v37
	v_div_fixup_f32 v23, v31, v23, v30
	v_add_f32_e32 v31, v35, v23
	v_cmp_lt_i32_e32 vcc, v24, v20
	s_and_saveexec_b64 s[78:79], vcc
	s_cbranch_execz .LBB17_180
; %bb.154:                              ;   in Loop: Header=BB17_139 Depth=2
	v_lshl_add_u64 v[22:23], v[24:25], 2, s[44:45]
	global_load_dword v30, v[22:23], off
	v_mov_b32_e32 v22, 0
	v_mov_b32_e32 v23, 1.0
	s_waitcnt vmcnt(0)
	v_cmp_neq_f32_e32 vcc, 0, v30
	s_and_saveexec_b64 s[80:81], vcc
	s_cbranch_execz .LBB17_162
; %bb.155:                              ;   in Loop: Header=BB17_139 Depth=2
	v_mov_b32_e32 v23, 0
	v_cmp_neq_f32_e32 vcc, 0, v31
	v_mov_b32_e32 v22, 1.0
	s_and_saveexec_b64 s[82:83], vcc
	s_cbranch_execz .LBB17_161
; %bb.156:                              ;   in Loop: Header=BB17_139 Depth=2
	v_cmp_ngt_f32_e64 s[0:1], |v30|, |v31|
                                        ; implicit-def: $vgpr23
	s_and_saveexec_b64 s[84:85], s[0:1]
	s_xor_b64 s[84:85], exec, s[84:85]
	s_cbranch_execz .LBB17_158
; %bb.157:                              ;   in Loop: Header=BB17_139 Depth=2
	v_div_scale_f32 v4, s[0:1], v31, v31, -v30
	v_rcp_f32_e32 v22, v4
	v_div_scale_f32 v23, vcc, -v30, v31, -v30
	v_fma_f32 v34, -v4, v22, 1.0
	v_fmac_f32_e32 v22, v34, v22
	v_mul_f32_e32 v34, v23, v22
	v_fma_f32 v35, -v4, v34, v23
	v_fmac_f32_e32 v34, v35, v22
	v_fma_f32 v4, -v4, v34, v23
	v_div_fmas_f32 v4, v4, v22, v34
	v_div_fixup_f32 v4, v4, v31, -v30
	v_fma_f32 v22, v4, v4, 1.0
	v_mul_f32_e32 v23, 0x4f800000, v22
	v_cmp_gt_f32_e32 vcc, s35, v22
	s_nop 1
	v_cndmask_b32_e32 v22, v22, v23, vcc
	v_sqrt_f32_e32 v23, v22
	s_nop 0
	v_add_u32_e32 v31, -1, v23
	v_fma_f32 v34, -v31, v23, v22
	v_cmp_ge_f32_e64 s[0:1], 0, v34
	v_add_u32_e32 v34, 1, v23
	s_nop 0
	v_cndmask_b32_e64 v31, v23, v31, s[0:1]
	v_fma_f32 v23, -v34, v23, v22
	v_cmp_lt_f32_e64 s[0:1], 0, v23
	s_nop 1
	v_cndmask_b32_e64 v23, v31, v34, s[0:1]
	v_mul_f32_e32 v31, 0x37800000, v23
	v_cndmask_b32_e32 v23, v23, v31, vcc
	v_cmp_class_f32_e32 vcc, v22, v1
	s_nop 1
	v_cndmask_b32_e32 v22, v23, v22, vcc
	v_div_scale_f32 v23, s[0:1], v22, v22, 1.0
	v_rcp_f32_e32 v31, v23
	s_nop 0
	v_fma_f32 v34, -v23, v31, 1.0
	v_fmac_f32_e32 v31, v34, v31
	v_div_scale_f32 v34, vcc, 1.0, v22, 1.0
	v_mul_f32_e32 v35, v34, v31
	v_fma_f32 v36, -v23, v35, v34
	v_fmac_f32_e32 v35, v36, v31
	v_fma_f32 v23, -v23, v35, v34
	v_div_fmas_f32 v23, v23, v31, v35
	v_div_fixup_f32 v23, v23, v22, 1.0
	v_mul_f32_e32 v22, v4, v23
                                        ; implicit-def: $vgpr31
.LBB17_158:                             ;   in Loop: Header=BB17_139 Depth=2
	s_andn2_saveexec_b64 s[84:85], s[84:85]
	s_cbranch_execz .LBB17_160
; %bb.159:                              ;   in Loop: Header=BB17_139 Depth=2
	v_div_scale_f32 v4, s[0:1], v30, v30, -v31
	v_rcp_f32_e32 v22, v4
	v_div_scale_f32 v23, vcc, -v31, v30, -v31
	v_fma_f32 v34, -v4, v22, 1.0
	v_fmac_f32_e32 v22, v34, v22
	v_mul_f32_e32 v34, v23, v22
	v_fma_f32 v35, -v4, v34, v23
	v_fmac_f32_e32 v34, v35, v22
	v_fma_f32 v4, -v4, v34, v23
	v_div_fmas_f32 v4, v4, v22, v34
	v_div_fixup_f32 v4, v4, v30, -v31
	v_fma_f32 v22, v4, v4, 1.0
	v_mul_f32_e32 v23, 0x4f800000, v22
	v_cmp_gt_f32_e32 vcc, s35, v22
	s_nop 1
	v_cndmask_b32_e32 v22, v22, v23, vcc
	v_sqrt_f32_e32 v23, v22
	s_nop 0
	v_add_u32_e32 v31, -1, v23
	v_fma_f32 v34, -v31, v23, v22
	v_cmp_ge_f32_e64 s[0:1], 0, v34
	v_add_u32_e32 v34, 1, v23
	s_nop 0
	v_cndmask_b32_e64 v31, v23, v31, s[0:1]
	v_fma_f32 v23, -v34, v23, v22
	v_cmp_lt_f32_e64 s[0:1], 0, v23
	s_nop 1
	v_cndmask_b32_e64 v23, v31, v34, s[0:1]
	v_mul_f32_e32 v31, 0x37800000, v23
	v_cndmask_b32_e32 v23, v23, v31, vcc
	v_cmp_class_f32_e32 vcc, v22, v1
	s_nop 1
	v_cndmask_b32_e32 v22, v23, v22, vcc
	v_div_scale_f32 v23, s[0:1], v22, v22, 1.0
	v_rcp_f32_e32 v31, v23
	s_nop 0
	v_fma_f32 v34, -v23, v31, 1.0
	v_fmac_f32_e32 v31, v34, v31
	v_div_scale_f32 v34, vcc, 1.0, v22, 1.0
	v_mul_f32_e32 v35, v34, v31
	v_fma_f32 v36, -v23, v35, v34
	v_fmac_f32_e32 v35, v36, v31
	v_fma_f32 v23, -v23, v35, v34
	v_div_fmas_f32 v23, v23, v31, v35
	v_div_fixup_f32 v22, v23, v22, 1.0
	v_mul_f32_e32 v23, v4, v22
.LBB17_160:                             ;   in Loop: Header=BB17_139 Depth=2
	s_or_b64 exec, exec, s[84:85]
.LBB17_161:                             ;   in Loop: Header=BB17_139 Depth=2
	s_or_b64 exec, exec, s[82:83]
.LBB17_162:                             ;   in Loop: Header=BB17_139 Depth=2
	s_or_b64 exec, exec, s[80:81]
	global_load_dword v4, v[32:33], off offset:4
	v_add_u32_e32 v34, 1, v24
	v_lshl_add_u64 v[36:37], v[24:25], 2, s[46:47]
	v_xor_b32_e32 v40, 0x80000000, v22
	v_cmp_lt_i32_e32 vcc, v34, v20
	v_lshl_add_u64 v[38:39], s[10:11], 2, v[36:37]
	s_waitcnt vmcnt(0)
	v_sub_f32_e32 v4, v4, v21
	v_pk_mul_f32 v[42:43], v[22:23], v[4:5]
	s_nop 0
	v_fma_f32 v25, v30, v43, -v42
	v_mul_f32_e64 v4, v25, -v22
	v_fma_f32 v21, v25, -v22, v21
	v_fma_f32 v31, v23, v25, -v30
	ds_write_b32 v46, v4 offset:8
	global_store_dword v[32:33], v21, off
	global_store_dword v[36:37], v23, off
	global_store_dword v[38:39], v40, off offset:-4
	s_and_saveexec_b64 s[80:81], vcc
	s_cbranch_execz .LBB17_179
; %bb.163:                              ;   in Loop: Header=BB17_139 Depth=2
	v_ashrrev_i32_e32 v35, 31, v34
	v_lshlrev_b64 v[36:37], 2, v[34:35]
	v_lshl_add_u64 v[32:33], s[46:47], 0, v[36:37]
	v_lshl_add_u64 v[34:35], s[58:59], 0, v[36:37]
	;; [unrolled: 1-line block ×3, first 2 shown]
	s_mov_b32 s41, 1
	s_mov_b64 s[82:83], 0
	s_branch .LBB17_165
.LBB17_164:                             ;   in Loop: Header=BB17_165 Depth=3
	global_load_dwordx2 v[30:31], v[36:37], off
	s_add_i32 s41, s41, 1
	v_add_u32_e32 v25, s41, v24
	v_cmp_ge_i32_e32 vcc, v25, v20
	v_mul_f32_e32 v21, v23, v21
	v_lshl_add_u64 v[22:23], v[36:37], 0, 4
	v_lshl_add_u64 v[34:35], v[34:35], 0, 4
	v_xor_b32_e32 v40, 0x80000000, v38
	v_lshl_add_u64 v[42:43], v[32:33], 0, s[60:61]
	s_or_b64 s[82:83], vcc, s[82:83]
	s_waitcnt vmcnt(0)
	v_sub_f32_e32 v25, v30, v4
	v_sub_f32_e32 v4, v31, v25
	v_pk_mul_f32 v[30:31], v[38:39], v[4:5]
	s_nop 0
	v_fma_f32 v30, v21, v31, -v30
	v_fma_f32 v25, v30, -v38, v25
	v_mul_f32_e64 v4, v30, -v38
	v_fma_f32 v31, v39, v30, -v21
	global_store_dword v[36:37], v25, off
	global_store_dword v[32:33], v39, off
	;; [unrolled: 1-line block ×3, first 2 shown]
	v_lshl_add_u64 v[32:33], v[32:33], 0, 4
	v_mov_b64_e32 v[36:37], v[22:23]
	v_mov_b32_e32 v23, v39
	s_andn2_b64 exec, exec, s[82:83]
	s_cbranch_execz .LBB17_178
.LBB17_165:                             ;   Parent Loop BB17_7 Depth=1
                                        ;     Parent Loop BB17_139 Depth=2
                                        ; =>    This Inner Loop Header: Depth=3
	global_load_dword v21, v[34:35], off offset:4
	v_mov_b32_e32 v38, 0
	v_mov_b32_e32 v39, 1.0
	s_waitcnt vmcnt(0)
	v_mul_f32_e32 v30, v40, v21
	v_cmp_neq_f32_e32 vcc, 0, v30
	s_and_saveexec_b64 s[84:85], vcc
	s_cbranch_execz .LBB17_175
; %bb.166:                              ;   in Loop: Header=BB17_165 Depth=3
	v_cmp_neq_f32_e32 vcc, 0, v31
	v_xor_b32_e32 v22, 0x80000000, v30
                                        ; implicit-def: $vgpr39
	s_and_saveexec_b64 s[0:1], vcc
	s_xor_b64 s[86:87], exec, s[0:1]
	s_cbranch_execz .LBB17_172
; %bb.167:                              ;   in Loop: Header=BB17_165 Depth=3
	v_cmp_ngt_f32_e64 s[0:1], |v30|, |v31|
                                        ; implicit-def: $vgpr39
	s_and_saveexec_b64 s[88:89], s[0:1]
	s_xor_b64 s[88:89], exec, s[88:89]
	s_cbranch_execz .LBB17_169
; %bb.168:                              ;   in Loop: Header=BB17_165 Depth=3
	v_div_scale_f32 v22, s[0:1], v31, v31, -v30
	v_rcp_f32_e32 v25, v22
	v_div_scale_f32 v38, vcc, -v30, v31, -v30
	v_fma_f32 v39, -v22, v25, 1.0
	v_fmac_f32_e32 v25, v39, v25
	v_mul_f32_e32 v39, v38, v25
	v_fma_f32 v40, -v22, v39, v38
	v_fmac_f32_e32 v39, v40, v25
	v_fma_f32 v22, -v22, v39, v38
	v_div_fmas_f32 v22, v22, v25, v39
	v_div_fixup_f32 v22, v22, v31, -v30
	v_fma_f32 v25, v22, v22, 1.0
	v_mul_f32_e32 v38, 0x4f800000, v25
	v_cmp_gt_f32_e32 vcc, s35, v25
	s_nop 1
	v_cndmask_b32_e32 v25, v25, v38, vcc
	v_sqrt_f32_e32 v38, v25
	s_nop 0
	v_add_u32_e32 v39, -1, v38
	v_fma_f32 v40, -v39, v38, v25
	v_cmp_ge_f32_e64 s[0:1], 0, v40
	v_add_u32_e32 v40, 1, v38
	s_nop 0
	v_cndmask_b32_e64 v39, v38, v39, s[0:1]
	v_fma_f32 v38, -v40, v38, v25
	v_cmp_lt_f32_e64 s[0:1], 0, v38
	s_nop 1
	v_cndmask_b32_e64 v38, v39, v40, s[0:1]
	v_mul_f32_e32 v39, 0x37800000, v38
	v_cndmask_b32_e32 v38, v38, v39, vcc
	v_cmp_class_f32_e32 vcc, v25, v1
	s_nop 1
	v_cndmask_b32_e32 v25, v38, v25, vcc
	v_div_scale_f32 v38, s[0:1], v25, v25, 1.0
	v_rcp_f32_e32 v39, v38
	s_nop 0
	v_fma_f32 v40, -v38, v39, 1.0
	v_fmac_f32_e32 v39, v40, v39
	v_div_scale_f32 v40, vcc, 1.0, v25, 1.0
	v_mul_f32_e32 v41, v40, v39
	v_fma_f32 v42, -v38, v41, v40
	v_fmac_f32_e32 v41, v42, v39
	v_fma_f32 v38, -v38, v41, v40
	v_div_fmas_f32 v38, v38, v39, v41
	v_div_fixup_f32 v39, v38, v25, 1.0
	v_mul_f32_e32 v38, v22, v39
.LBB17_169:                             ;   in Loop: Header=BB17_165 Depth=3
	s_andn2_saveexec_b64 s[88:89], s[88:89]
	s_cbranch_execz .LBB17_171
; %bb.170:                              ;   in Loop: Header=BB17_165 Depth=3
	v_div_scale_f32 v22, s[0:1], v30, v30, -v31
	v_rcp_f32_e32 v25, v22
	v_div_scale_f32 v38, vcc, -v31, v30, -v31
	v_fma_f32 v39, -v22, v25, 1.0
	v_fmac_f32_e32 v25, v39, v25
	v_mul_f32_e32 v39, v38, v25
	v_fma_f32 v40, -v22, v39, v38
	v_fmac_f32_e32 v39, v40, v25
	v_fma_f32 v22, -v22, v39, v38
	v_div_fmas_f32 v22, v22, v25, v39
	v_div_fixup_f32 v22, v22, v30, -v31
	v_fma_f32 v25, v22, v22, 1.0
	v_mul_f32_e32 v38, 0x4f800000, v25
	v_cmp_gt_f32_e32 vcc, s35, v25
	s_nop 1
	v_cndmask_b32_e32 v25, v25, v38, vcc
	v_sqrt_f32_e32 v38, v25
	s_nop 0
	v_add_u32_e32 v39, -1, v38
	v_fma_f32 v40, -v39, v38, v25
	v_cmp_ge_f32_e64 s[0:1], 0, v40
	v_add_u32_e32 v40, 1, v38
	s_nop 0
	v_cndmask_b32_e64 v39, v38, v39, s[0:1]
	v_fma_f32 v38, -v40, v38, v25
	v_cmp_lt_f32_e64 s[0:1], 0, v38
	s_nop 1
	v_cndmask_b32_e64 v38, v39, v40, s[0:1]
	v_mul_f32_e32 v39, 0x37800000, v38
	v_cndmask_b32_e32 v38, v38, v39, vcc
	v_cmp_class_f32_e32 vcc, v25, v1
	s_nop 1
	v_cndmask_b32_e32 v25, v38, v25, vcc
	v_div_scale_f32 v38, s[0:1], v25, v25, 1.0
	v_rcp_f32_e32 v39, v38
	s_nop 0
	v_fma_f32 v40, -v38, v39, 1.0
	v_fmac_f32_e32 v39, v40, v39
	v_div_scale_f32 v40, vcc, 1.0, v25, 1.0
	v_mul_f32_e32 v41, v40, v39
	v_fma_f32 v42, -v38, v41, v40
	v_fmac_f32_e32 v41, v42, v39
	v_fma_f32 v38, -v38, v41, v40
	v_div_fmas_f32 v38, v38, v39, v41
	v_div_fixup_f32 v38, v38, v25, 1.0
	v_mul_f32_e32 v39, v22, v38
.LBB17_171:                             ;   in Loop: Header=BB17_165 Depth=3
	s_or_b64 exec, exec, s[88:89]
	v_pk_mul_f32 v[30:31], v[30:31], v[38:39]
	s_nop 0
	v_sub_f32_e32 v22, v31, v30
.LBB17_172:                             ;   in Loop: Header=BB17_165 Depth=3
	s_andn2_saveexec_b64 s[0:1], s[86:87]
; %bb.173:                              ;   in Loop: Header=BB17_165 Depth=3
	v_mov_b32_e32 v38, 1.0
	v_mov_b32_e32 v39, 0
; %bb.174:                              ;   in Loop: Header=BB17_165 Depth=3
	s_or_b64 exec, exec, s[0:1]
	v_mov_b32_e32 v31, v22
.LBB17_175:                             ;   in Loop: Header=BB17_165 Depth=3
	s_or_b64 exec, exec, s[84:85]
	s_cmp_eq_u32 s41, 0
	s_cbranch_scc1 .LBB17_164
; %bb.176:                              ;   in Loop: Header=BB17_165 Depth=3
	global_store_dword v[34:35], v31, off
	s_branch .LBB17_164
.LBB17_177:                             ;   in Loop: Header=BB17_139 Depth=2
	ds_write2_b32 v46, v24, v20 offset0:1 offset1:4
	s_cbranch_execz .LBB17_150
	s_branch .LBB17_151
.LBB17_178:                             ;   in Loop: Header=BB17_139 Depth=2
	s_or_b64 exec, exec, s[82:83]
	ds_write_b32 v46, v4 offset:8
.LBB17_179:                             ;   in Loop: Header=BB17_139 Depth=2
	s_or_b64 exec, exec, s[80:81]
	global_load_dword v22, v[26:27], off
.LBB17_180:                             ;   in Loop: Header=BB17_139 Depth=2
	s_or_b64 exec, exec, s[78:79]
	s_waitcnt vmcnt(0)
	v_sub_f32_e32 v4, v22, v4
	global_store_dword v[26:27], v4, off
	global_store_dword v[28:29], v31, off offset:-4
                                        ; implicit-def: $vgpr26_vgpr27
                                        ; implicit-def: $vgpr28_vgpr29
                                        ; implicit-def: $vgpr20
                                        ; implicit-def: $vgpr22
                                        ; implicit-def: $vgpr24
.LBB17_181:                             ;   in Loop: Header=BB17_139 Depth=2
	s_andn2_saveexec_b64 s[78:79], s[4:5]
	s_cbranch_execz .LBB17_214
; %bb.182:                              ;   in Loop: Header=BB17_139 Depth=2
	v_ashrrev_i32_e32 v25, 31, v24
	v_lshlrev_b64 v[30:31], 2, v[24:25]
	v_lshl_add_u64 v[32:33], s[22:23], 0, v[30:31]
	v_lshl_add_u64 v[30:31], s[44:45], 0, v[30:31]
	global_load_dword v23, v[32:33], off
	s_nop 0
	global_load_dword v31, v[30:31], off
                                        ; implicit-def: $vgpr4
	s_waitcnt vmcnt(1)
	v_sub_f32_e32 v30, v23, v22
	s_waitcnt vmcnt(0)
	v_add_f32_e32 v21, v31, v31
	v_and_b32_e32 v32, 0x7fffffff, v21
	v_cmp_ngt_f32_e64 s[0:1], |v30|, |v21|
	s_and_saveexec_b64 s[4:5], s[0:1]
	s_xor_b64 s[4:5], exec, s[4:5]
	s_cbranch_execz .LBB17_188
; %bb.183:                              ;   in Loop: Header=BB17_139 Depth=2
	v_cmp_nlt_f32_e64 s[0:1], |v30|, |v21|
                                        ; implicit-def: $vgpr4
	s_and_saveexec_b64 s[80:81], s[0:1]
	s_xor_b64 s[0:1], exec, s[80:81]
; %bb.184:                              ;   in Loop: Header=BB17_139 Depth=2
	v_cvt_f64_f32_e32 v[32:33], v32
	v_mul_f64 v[32:33], v[32:33], s[92:93]
	v_cvt_f32_f64_e32 v4, v[32:33]
                                        ; implicit-def: $vgpr32
; %bb.185:                              ;   in Loop: Header=BB17_139 Depth=2
	s_andn2_saveexec_b64 s[80:81], s[0:1]
	s_cbranch_execz .LBB17_187
; %bb.186:                              ;   in Loop: Header=BB17_139 Depth=2
	v_and_b32_e32 v4, 0x7fffffff, v30
	v_div_scale_f32 v33, s[0:1], v32, v32, v4
	v_rcp_f32_e32 v34, v33
	v_div_scale_f32 v4, vcc, v4, v32, v4
	v_fma_f32 v32, -v33, v34, 1.0
	v_fmac_f32_e32 v34, v32, v34
	v_mul_f32_e32 v32, v4, v34
	v_fma_f32 v35, -v33, v32, v4
	v_fmac_f32_e32 v32, v35, v34
	v_fma_f32 v4, -v33, v32, v4
	v_div_fmas_f32 v4, v4, v34, v32
	v_div_fixup_f32 v4, v4, |v21|, |v30|
	v_fma_f32 v4, v4, v4, 1.0
	v_mul_f32_e32 v32, 0x4f800000, v4
	v_cmp_gt_f32_e32 vcc, s35, v4
	s_nop 1
	v_cndmask_b32_e32 v4, v4, v32, vcc
	v_sqrt_f32_e32 v32, v4
	s_nop 0
	v_add_u32_e32 v33, -1, v32
	v_fma_f32 v34, -v33, v32, v4
	v_cmp_ge_f32_e64 s[0:1], 0, v34
	v_add_u32_e32 v34, 1, v32
	s_nop 0
	v_cndmask_b32_e64 v33, v32, v33, s[0:1]
	v_fma_f32 v32, -v34, v32, v4
	v_cmp_lt_f32_e64 s[0:1], 0, v32
	s_nop 1
	v_cndmask_b32_e64 v32, v33, v34, s[0:1]
	v_mul_f32_e32 v33, 0x37800000, v32
	v_cndmask_b32_e32 v32, v32, v33, vcc
	v_cmp_class_f32_e32 vcc, v4, v1
	s_nop 1
	v_cndmask_b32_e32 v4, v32, v4, vcc
	v_mul_f32_e64 v4, |v21|, v4
.LBB17_187:                             ;   in Loop: Header=BB17_139 Depth=2
	s_or_b64 exec, exec, s[80:81]
                                        ; implicit-def: $vgpr32
.LBB17_188:                             ;   in Loop: Header=BB17_139 Depth=2
	s_andn2_saveexec_b64 s[4:5], s[4:5]
	s_cbranch_execz .LBB17_190
; %bb.189:                              ;   in Loop: Header=BB17_139 Depth=2
	v_and_b32_e32 v4, 0x7fffffff, v30
	v_div_scale_f32 v33, s[0:1], v4, v4, v32
	v_rcp_f32_e32 v34, v33
	v_div_scale_f32 v4, vcc, v32, v4, v32
	v_fma_f32 v32, -v33, v34, 1.0
	v_fmac_f32_e32 v34, v32, v34
	v_mul_f32_e32 v32, v4, v34
	v_fma_f32 v35, -v33, v32, v4
	v_fmac_f32_e32 v32, v35, v34
	v_fma_f32 v4, -v33, v32, v4
	v_div_fmas_f32 v4, v4, v34, v32
	v_div_fixup_f32 v4, v4, |v30|, |v21|
	v_fma_f32 v4, v4, v4, 1.0
	v_mul_f32_e32 v32, 0x4f800000, v4
	v_cmp_gt_f32_e32 vcc, s35, v4
	s_nop 1
	v_cndmask_b32_e32 v4, v4, v32, vcc
	v_sqrt_f32_e32 v32, v4
	s_nop 0
	v_add_u32_e32 v33, -1, v32
	v_fma_f32 v34, -v33, v32, v4
	v_cmp_ge_f32_e64 s[0:1], 0, v34
	v_add_u32_e32 v34, 1, v32
	s_nop 0
	v_cndmask_b32_e64 v33, v32, v33, s[0:1]
	v_fma_f32 v32, -v34, v32, v4
	v_cmp_lt_f32_e64 s[0:1], 0, v32
	s_nop 1
	v_cndmask_b32_e64 v32, v33, v34, s[0:1]
	v_mul_f32_e32 v33, 0x37800000, v32
	v_cndmask_b32_e32 v32, v32, v33, vcc
	v_cmp_class_f32_e32 vcc, v4, v1
	s_nop 1
	v_cndmask_b32_e32 v4, v32, v4, vcc
	v_mul_f32_e64 v4, |v30|, v4
.LBB17_190:                             ;   in Loop: Header=BB17_139 Depth=2
	s_or_b64 exec, exec, s[4:5]
	v_add_f32_e32 v34, v22, v23
	v_cmp_gt_f32_e64 vcc, |v23|, |v22|
	s_nop 1
	v_cndmask_b32_e32 v33, v23, v22, vcc
	v_cndmask_b32_e32 v35, v22, v23, vcc
	v_cmp_ngt_f32_e32 vcc, 0, v34
                                        ; implicit-def: $vgpr22_vgpr23
	s_and_saveexec_b64 s[0:1], vcc
	s_xor_b64 s[0:1], exec, s[0:1]
	s_cbranch_execz .LBB17_196
; %bb.191:                              ;   in Loop: Header=BB17_139 Depth=2
	v_cmp_nlt_f32_e32 vcc, 0, v34
                                        ; implicit-def: $vgpr22_vgpr23
	s_and_saveexec_b64 s[4:5], vcc
	s_xor_b64 s[4:5], exec, s[4:5]
; %bb.192:                              ;   in Loop: Header=BB17_139 Depth=2
	v_pk_mul_f32 v[22:23], v[4:5], s[94:95] op_sel_hi:[0,1]
                                        ; implicit-def: $vgpr34
                                        ; implicit-def: $vgpr35
                                        ; implicit-def: $vgpr33
                                        ; implicit-def: $vgpr31
; %bb.193:                              ;   in Loop: Header=BB17_139 Depth=2
	s_andn2_saveexec_b64 s[4:5], s[4:5]
	s_cbranch_execz .LBB17_195
; %bb.194:                              ;   in Loop: Header=BB17_139 Depth=2
	v_add_f32_e32 v22, v34, v4
	v_mul_f32_e32 v22, 0.5, v22
	v_cvt_f64_f32_e32 v[34:35], v35
	v_cvt_f64_f32_e32 v[36:37], v22
	v_div_scale_f64 v[38:39], s[80:81], v[36:37], v[36:37], v[34:35]
	v_rcp_f64_e32 v[40:41], v[38:39]
	v_cvt_f64_f32_e32 v[32:33], v33
	v_fma_f64 v[42:43], -v[38:39], v[40:41], 1.0
	v_fmac_f64_e32 v[40:41], v[40:41], v[42:43]
	v_fma_f64 v[42:43], -v[38:39], v[40:41], 1.0
	v_fmac_f64_e32 v[40:41], v[40:41], v[42:43]
	v_div_scale_f64 v[42:43], vcc, v[34:35], v[36:37], v[34:35]
	v_mul_f64 v[44:45], v[42:43], v[40:41]
	v_fma_f64 v[38:39], -v[38:39], v[44:45], v[42:43]
	v_cvt_f64_f32_e32 v[42:43], v31
	v_div_scale_f64 v[52:53], s[80:81], v[36:37], v[36:37], v[42:43]
	v_rcp_f64_e32 v[54:55], v[52:53]
	v_div_fmas_f64 v[38:39], v[38:39], v[40:41], v[44:45]
	v_div_fixup_f64 v[34:35], v[38:39], v[36:37], v[34:35]
	v_fma_f64 v[38:39], -v[52:53], v[54:55], 1.0
	v_fmac_f64_e32 v[54:55], v[54:55], v[38:39]
	v_fma_f64 v[38:39], -v[52:53], v[54:55], 1.0
	v_fmac_f64_e32 v[54:55], v[54:55], v[38:39]
	v_div_scale_f64 v[38:39], vcc, v[42:43], v[36:37], v[42:43]
	v_mul_f64 v[40:41], v[38:39], v[54:55]
	v_fma_f64 v[38:39], -v[52:53], v[40:41], v[38:39]
	s_nop 1
	v_div_fmas_f64 v[38:39], v[38:39], v[54:55], v[40:41]
	v_div_fixup_f64 v[36:37], v[38:39], v[36:37], v[42:43]
	v_mul_f64 v[36:37], v[36:37], v[42:43]
	v_fma_f64 v[32:33], v[34:35], v[32:33], -v[36:37]
	v_cvt_f32_f64_e32 v23, v[32:33]
.LBB17_195:                             ;   in Loop: Header=BB17_139 Depth=2
	s_or_b64 exec, exec, s[4:5]
                                        ; implicit-def: $vgpr34
                                        ; implicit-def: $vgpr35
                                        ; implicit-def: $vgpr33
                                        ; implicit-def: $vgpr31
.LBB17_196:                             ;   in Loop: Header=BB17_139 Depth=2
	s_or_saveexec_b64 s[0:1], s[0:1]
	v_mov_b32_e32 v32, 1
	s_xor_b64 exec, exec, s[0:1]
	s_cbranch_execz .LBB17_198
; %bb.197:                              ;   in Loop: Header=BB17_139 Depth=2
	v_sub_f32_e32 v22, v34, v4
	v_mul_f32_e32 v22, 0.5, v22
	v_cvt_f64_f32_e32 v[34:35], v35
	v_cvt_f64_f32_e32 v[36:37], v22
	v_div_scale_f64 v[38:39], s[4:5], v[36:37], v[36:37], v[34:35]
	v_rcp_f64_e32 v[40:41], v[38:39]
	v_cvt_f64_f32_e32 v[32:33], v33
	v_fma_f64 v[42:43], -v[38:39], v[40:41], 1.0
	v_fmac_f64_e32 v[40:41], v[40:41], v[42:43]
	v_fma_f64 v[42:43], -v[38:39], v[40:41], 1.0
	v_fmac_f64_e32 v[40:41], v[40:41], v[42:43]
	v_div_scale_f64 v[42:43], vcc, v[34:35], v[36:37], v[34:35]
	v_mul_f64 v[44:45], v[42:43], v[40:41]
	v_fma_f64 v[38:39], -v[38:39], v[44:45], v[42:43]
	v_cvt_f64_f32_e32 v[42:43], v31
	v_div_scale_f64 v[52:53], s[4:5], v[36:37], v[36:37], v[42:43]
	v_rcp_f64_e32 v[54:55], v[52:53]
	v_div_fmas_f64 v[38:39], v[38:39], v[40:41], v[44:45]
	v_div_fixup_f64 v[34:35], v[38:39], v[36:37], v[34:35]
	v_fma_f64 v[38:39], -v[52:53], v[54:55], 1.0
	v_fmac_f64_e32 v[54:55], v[54:55], v[38:39]
	v_fma_f64 v[38:39], -v[52:53], v[54:55], 1.0
	v_fmac_f64_e32 v[54:55], v[54:55], v[38:39]
	v_div_scale_f64 v[38:39], vcc, v[42:43], v[36:37], v[42:43]
	v_mul_f64 v[40:41], v[38:39], v[54:55]
	v_fma_f64 v[38:39], -v[52:53], v[40:41], v[38:39]
	s_nop 1
	v_div_fmas_f64 v[38:39], v[38:39], v[54:55], v[40:41]
	v_div_fixup_f64 v[36:37], v[38:39], v[36:37], v[42:43]
	v_mul_f64 v[36:37], v[36:37], v[42:43]
	v_fma_f64 v[32:33], v[34:35], v[32:33], -v[36:37]
	v_cvt_f32_f64_e32 v23, v[32:33]
	v_mov_b32_e32 v32, -1
.LBB17_198:                             ;   in Loop: Header=BB17_139 Depth=2
	s_or_b64 exec, exec, s[0:1]
	v_cmp_nle_f32_e64 s[4:5], 0, v30
                                        ; implicit-def: $vgpr31
	s_nop 1
	v_cndmask_b32_e64 v4, v4, -v4, s[4:5]
	v_add_f32_e32 v4, v30, v4
	v_cmp_ngt_f32_e64 s[0:1], |v4|, |v21|
                                        ; implicit-def: $vgpr30
	s_and_saveexec_b64 s[80:81], s[0:1]
	s_xor_b64 s[80:81], exec, s[80:81]
	s_cbranch_execz .LBB17_202
; %bb.199:                              ;   in Loop: Header=BB17_139 Depth=2
	v_mov_b32_e32 v30, 0
	v_cmp_neq_f32_e32 vcc, 0, v21
	v_mov_b32_e32 v31, 1.0
	s_and_saveexec_b64 s[82:83], vcc
	s_cbranch_execz .LBB17_201
; %bb.200:                              ;   in Loop: Header=BB17_139 Depth=2
	v_div_scale_f32 v30, s[0:1], v21, v21, -v4
	v_rcp_f32_e32 v31, v30
	v_div_scale_f32 v33, vcc, -v4, v21, -v4
	v_fma_f32 v34, -v30, v31, 1.0
	v_fmac_f32_e32 v31, v34, v31
	v_mul_f32_e32 v34, v33, v31
	v_fma_f32 v35, -v30, v34, v33
	v_fmac_f32_e32 v34, v35, v31
	v_fma_f32 v30, -v30, v34, v33
	v_div_fmas_f32 v30, v30, v31, v34
	v_div_fixup_f32 v4, v30, v21, -v4
	v_fma_f32 v21, v4, v4, 1.0
	v_mul_f32_e32 v30, 0x4f800000, v21
	v_cmp_gt_f32_e32 vcc, s35, v21
	s_nop 1
	v_cndmask_b32_e32 v21, v21, v30, vcc
	v_sqrt_f32_e32 v30, v21
	s_nop 0
	v_add_u32_e32 v31, -1, v30
	v_fma_f32 v33, -v31, v30, v21
	v_cmp_ge_f32_e64 s[0:1], 0, v33
	v_add_u32_e32 v33, 1, v30
	s_nop 0
	v_cndmask_b32_e64 v31, v30, v31, s[0:1]
	v_fma_f32 v30, -v33, v30, v21
	v_cmp_lt_f32_e64 s[0:1], 0, v30
	s_nop 1
	v_cndmask_b32_e64 v30, v31, v33, s[0:1]
	v_mul_f32_e32 v31, 0x37800000, v30
	v_cndmask_b32_e32 v30, v30, v31, vcc
	v_cmp_class_f32_e32 vcc, v21, v1
	s_nop 1
	v_cndmask_b32_e32 v21, v30, v21, vcc
	v_div_scale_f32 v30, s[0:1], v21, v21, 1.0
	v_rcp_f32_e32 v31, v30
	s_nop 0
	v_fma_f32 v33, -v30, v31, 1.0
	v_fmac_f32_e32 v31, v33, v31
	v_div_scale_f32 v33, vcc, 1.0, v21, 1.0
	v_mul_f32_e32 v34, v33, v31
	v_fma_f32 v35, -v30, v34, v33
	v_fmac_f32_e32 v34, v35, v31
	v_fma_f32 v30, -v30, v34, v33
	v_div_fmas_f32 v30, v30, v31, v34
	v_div_fixup_f32 v31, v30, v21, 1.0
	v_mul_f32_e32 v30, v4, v31
.LBB17_201:                             ;   in Loop: Header=BB17_139 Depth=2
	s_or_b64 exec, exec, s[82:83]
                                        ; implicit-def: $vgpr4
                                        ; implicit-def: $vgpr21
.LBB17_202:                             ;   in Loop: Header=BB17_139 Depth=2
	s_andn2_saveexec_b64 s[80:81], s[80:81]
	s_cbranch_execz .LBB17_204
; %bb.203:                              ;   in Loop: Header=BB17_139 Depth=2
	v_div_scale_f32 v30, s[0:1], v4, v4, -v21
	v_rcp_f32_e32 v31, v30
	v_div_scale_f32 v33, vcc, -v21, v4, -v21
	v_fma_f32 v34, -v30, v31, 1.0
	v_fmac_f32_e32 v31, v34, v31
	v_mul_f32_e32 v34, v33, v31
	v_fma_f32 v35, -v30, v34, v33
	v_fmac_f32_e32 v34, v35, v31
	v_fma_f32 v30, -v30, v34, v33
	v_div_fmas_f32 v30, v30, v31, v34
	v_div_fixup_f32 v4, v30, v4, -v21
	v_fma_f32 v21, v4, v4, 1.0
	v_mul_f32_e32 v30, 0x4f800000, v21
	v_cmp_gt_f32_e32 vcc, s35, v21
	s_nop 1
	v_cndmask_b32_e32 v21, v21, v30, vcc
	v_sqrt_f32_e32 v30, v21
	s_nop 0
	v_add_u32_e32 v31, -1, v30
	v_fma_f32 v33, -v31, v30, v21
	v_cmp_ge_f32_e64 s[0:1], 0, v33
	v_add_u32_e32 v33, 1, v30
	s_nop 0
	v_cndmask_b32_e64 v31, v30, v31, s[0:1]
	v_fma_f32 v30, -v33, v30, v21
	v_cmp_lt_f32_e64 s[0:1], 0, v30
	s_nop 1
	v_cndmask_b32_e64 v30, v31, v33, s[0:1]
	v_mul_f32_e32 v31, 0x37800000, v30
	v_cndmask_b32_e32 v30, v30, v31, vcc
	v_cmp_class_f32_e32 vcc, v21, v1
	s_nop 1
	v_cndmask_b32_e32 v21, v30, v21, vcc
	v_div_scale_f32 v30, s[0:1], v21, v21, 1.0
	v_rcp_f32_e32 v31, v30
	s_nop 0
	v_fma_f32 v33, -v30, v31, 1.0
	v_fmac_f32_e32 v31, v33, v31
	v_div_scale_f32 v33, vcc, 1.0, v21, 1.0
	v_mul_f32_e32 v34, v33, v31
	v_fma_f32 v35, -v30, v34, v33
	v_fmac_f32_e32 v34, v35, v31
	v_fma_f32 v30, -v30, v34, v33
	v_div_fmas_f32 v30, v30, v31, v34
	v_div_fixup_f32 v30, v30, v21, 1.0
	v_mul_f32_e32 v31, v4, v30
.LBB17_204:                             ;   in Loop: Header=BB17_139 Depth=2
	s_or_b64 exec, exec, s[80:81]
	v_cndmask_b32_e64 v4, 1, -1, s[4:5]
	v_cmp_eq_u32_e32 vcc, v32, v4
	v_lshl_add_u64 v[24:25], v[24:25], 2, s[46:47]
	s_nop 0
	v_cndmask_b32_e64 v4, v31, -v30, vcc
	v_cndmask_b32_e32 v21, v30, v31, vcc
	global_store_dword v[24:25], v4, off
	v_lshl_add_u64 v[24:25], s[10:11], 2, v[24:25]
	global_store_dword v[24:25], v21, off offset:-4
	global_store_dwordx2 v[26:27], v[22:23], off offset:-4
	v_lshl_add_u64 v[22:23], v[28:29], 2, s[44:45]
	v_add_u32_e32 v4, -2, v20
	global_store_dword v[22:23], v46, off offset:-4
	ds_write_b32 v46, v4
	s_or_b64 exec, exec, s[78:79]
                                        ; implicit-def: $vgpr4
.LBB17_205:                             ;   in Loop: Header=BB17_139 Depth=2
	s_andn2_saveexec_b64 s[0:1], s[76:77]
.LBB17_206:                             ;   in Loop: Header=BB17_139 Depth=2
	ds_write_b32 v46, v4
.LBB17_207:                             ;   in Loop: Header=BB17_139 Depth=2
	s_or_b64 exec, exec, s[0:1]
.LBB17_208:                             ;   in Loop: Header=BB17_139 Depth=2
	s_or_b64 exec, exec, s[6:7]
	s_waitcnt lgkmcnt(0)
	s_barrier
	ds_read_b64 v[20:21], v46
	s_waitcnt lgkmcnt(0)
	v_readfirstlane_b32 s4, v21
	s_nop 1
	v_cmp_eq_u32_e32 vcc, s4, v20
	v_mov_b32_e32 v20, s4
	s_cbranch_vccnz .LBB17_138
; %bb.209:                              ;   in Loop: Header=BB17_139 Depth=2
	s_and_saveexec_b64 s[0:1], s[2:3]
	s_cbranch_execz .LBB17_137
; %bb.210:                              ;   in Loop: Header=BB17_139 Depth=2
	ds_read_b32 v4, v46 offset:16
	s_ashr_i32 s5, s4, 31
	s_lshl_b64 s[76:77], s[4:5], 2
	s_mul_i32 s6, s4, s15
	v_mov_b32_e32 v22, v0
	s_waitcnt lgkmcnt(0)
	v_readfirstlane_b32 s5, v4
	s_sub_i32 s41, s5, s4
	s_add_u32 s4, s46, s76
	s_addc_u32 s5, s47, s77
	s_ashr_i32 s7, s6, 31
	s_lshl_b64 s[80:81], s[6:7], 3
	s_add_u32 s6, s14, s80
	s_addc_u32 s7, s33, s81
	s_cmp_gt_i32 s41, 0
	s_mul_hi_i32 s79, s41, s48
	s_mul_i32 s78, s41, s48
	s_cselect_b64 s[76:77], -1, 0
	s_lshl_b64 s[78:79], s[78:79], 3
	s_add_u32 s78, s6, s78
	s_addc_u32 s79, s7, s79
	v_lshl_add_u64 v[20:21], v[2:3], 0, s[80:81]
	s_mov_b64 s[80:81], 0
	s_branch .LBB17_212
.LBB17_211:                             ;   in Loop: Header=BB17_212 Depth=3
	v_lshl_add_u64 v[26:27], v[22:23], 3, s[78:79]
	v_add_u32_e32 v22, s34, v22
	v_cmp_le_i32_e32 vcc, s10, v22
	s_or_b64 s[80:81], vcc, s[80:81]
	v_lshl_add_u64 v[20:21], v[20:21], 0, s[64:65]
	s_waitcnt vmcnt(0)
	global_store_dwordx2 v[26:27], v[24:25], off
	s_andn2_b64 exec, exec, s[80:81]
	s_cbranch_execz .LBB17_137
.LBB17_212:                             ;   Parent Loop BB17_7 Depth=1
                                        ;     Parent Loop BB17_139 Depth=2
                                        ; =>    This Loop Header: Depth=3
                                        ;         Child Loop BB17_213 Depth 4
	v_ashrrev_i32_e32 v23, 31, v22
	v_lshl_add_u64 v[24:25], v[22:23], 3, s[6:7]
	global_load_dwordx2 v[24:25], v[24:25], off
	s_andn2_b64 vcc, exec, s[76:77]
	s_mov_b64 s[82:83], s[4:5]
	v_mov_b64_e32 v[26:27], v[20:21]
	s_mov_b32 s70, s41
	s_cbranch_vccnz .LBB17_211
.LBB17_213:                             ;   Parent Loop BB17_7 Depth=1
                                        ;     Parent Loop BB17_139 Depth=2
                                        ;       Parent Loop BB17_212 Depth=3
                                        ; =>      This Inner Loop Header: Depth=4
	s_add_u32 s84, s82, s60
	v_lshl_add_u64 v[28:29], v[26:27], 0, s[62:63]
	s_addc_u32 s85, s83, s61
	global_load_dwordx2 v[30:31], v[28:29], off
	global_load_dword v4, v46, s[84:85]
	global_load_dword v32, v46, s[82:83]
	s_add_i32 s70, s70, -1
	s_add_u32 s82, s82, 4
	s_addc_u32 s83, s83, 0
	s_cmp_eq_u32 s70, 0
	s_waitcnt vmcnt(1)
	v_pk_mul_f32 v[34:35], v[4:5], v[30:31] op_sel_hi:[0,1]
	v_pk_mul_f32 v[36:37], v[24:25], v[4:5] op_sel_hi:[1,0]
	s_waitcnt vmcnt(0)
	v_pk_fma_f32 v[34:35], v[24:25], v[32:33], v[34:35] op_sel_hi:[1,0,1]
	v_pk_fma_f32 v[24:25], v[32:33], v[30:31], v[36:37] op_sel_hi:[0,1,1] neg_lo:[0,0,1] neg_hi:[0,0,1]
	global_store_dwordx2 v[26:27], v[34:35], off
	v_mov_b64_e32 v[26:27], v[28:29]
	s_cbranch_scc0 .LBB17_213
	s_branch .LBB17_211
.LBB17_214:                             ;   in Loop: Header=BB17_139 Depth=2
	s_or_b64 exec, exec, s[78:79]
                                        ; implicit-def: $vgpr4
	s_andn2_saveexec_b64 s[0:1], s[76:77]
	s_cbranch_execnz .LBB17_206
	s_branch .LBB17_207
.LBB17_215:                             ;   in Loop: Header=BB17_7 Depth=1
	v_mov_b32_e32 v48, v21
	v_mov_b64_e32 v[8:9], v[24:25]
	v_mov_b64_e32 v[10:11], v[26:27]
.LBB17_216:                             ;   in Loop: Header=BB17_7 Depth=1
	s_barrier
	ds_read_b32 v4, v46 offset:24
	s_waitcnt lgkmcnt(0)
	v_cmp_nlt_f32_e32 vcc, s31, v4
	s_cbranch_vccnz .LBB17_223
; %bb.217:                              ;   in Loop: Header=BB17_7 Depth=1
	v_div_scale_f32 v22, s[0:1], v4, v4, s31
	v_rcp_f32_e32 v23, v22
	ds_read2_b32 v[20:21], v46 offset0:4 offset1:8
	v_fma_f32 v24, -v22, v23, 1.0
	v_fmac_f32_e32 v23, v24, v23
	v_div_scale_f32 v24, vcc, s31, v4, s31
	v_mul_f32_e32 v25, v24, v23
	v_fma_f32 v26, -v22, v25, v24
	v_fmac_f32_e32 v25, v26, v23
	v_fma_f32 v22, -v22, v25, v24
	v_div_fmas_f32 v22, v22, v23, v25
	v_div_fixup_f32 v26, v22, v4, s31
	s_and_saveexec_b64 s[0:1], s[8:9]
	s_cbranch_execz .LBB17_219
; %bb.218:                              ;   in Loop: Header=BB17_7 Depth=1
	s_waitcnt lgkmcnt(0)
	v_ashrrev_i32_e32 v23, 31, v21
	v_mov_b32_e32 v22, v21
	v_lshlrev_b64 v[22:23], 2, v[22:23]
	v_lshl_add_u64 v[22:23], s[22:23], 0, v[22:23]
	global_load_dword v24, v[22:23], off
	s_waitcnt vmcnt(0)
	v_mul_f32_e32 v24, v26, v24
	global_store_dword v[22:23], v24, off
.LBB17_219:                             ;   in Loop: Header=BB17_7 Depth=1
	s_or_b64 exec, exec, s[0:1]
	s_waitcnt lgkmcnt(0)
	v_add_u32_e32 v22, v20, v0
	v_cmp_lt_i32_e32 vcc, v22, v21
	s_and_saveexec_b64 s[0:1], vcc
	s_cbranch_execz .LBB17_222
; %bb.220:                              ;   in Loop: Header=BB17_7 Depth=1
	v_ashrrev_i32_e32 v23, 31, v22
	v_lshlrev_b64 v[24:25], 2, v[22:23]
	s_mov_b64 s[4:5], 0
.LBB17_221:                             ;   Parent Loop BB17_7 Depth=1
                                        ; =>  This Inner Loop Header: Depth=2
	v_lshl_add_u64 v[28:29], s[22:23], 0, v[24:25]
	global_load_dword v20, v[28:29], off
	v_lshl_add_u64 v[30:31], s[44:45], 0, v[24:25]
	v_add_u32_e32 v22, s34, v22
	v_cmp_ge_i32_e32 vcc, v22, v21
	v_lshl_add_u64 v[24:25], v[24:25], 0, s[52:53]
	s_or_b64 s[4:5], vcc, s[4:5]
	s_waitcnt vmcnt(0)
	v_mul_f32_e32 v20, v26, v20
	global_store_dword v[28:29], v20, off
	global_load_dword v20, v[30:31], off
	s_waitcnt vmcnt(0)
	v_mul_f32_e32 v20, v26, v20
	global_store_dword v[30:31], v20, off
	s_andn2_b64 exec, exec, s[4:5]
	s_cbranch_execnz .LBB17_221
.LBB17_222:                             ;   in Loop: Header=BB17_7 Depth=1
	s_or_b64 exec, exec, s[0:1]
.LBB17_223:                             ;   in Loop: Header=BB17_7 Depth=1
	v_cmp_ngt_f32_e32 vcc, s30, v4
	s_cbranch_vccnz .LBB17_5
; %bb.224:                              ;   in Loop: Header=BB17_7 Depth=1
	v_div_scale_f32 v22, s[0:1], v4, v4, s30
	v_rcp_f32_e32 v23, v22
	ds_read2_b32 v[20:21], v46 offset0:4 offset1:8
	v_fma_f32 v24, -v22, v23, 1.0
	v_fmac_f32_e32 v23, v24, v23
	v_div_scale_f32 v24, vcc, s30, v4, s30
	v_mul_f32_e32 v25, v24, v23
	v_fma_f32 v26, -v22, v25, v24
	v_fmac_f32_e32 v25, v26, v23
	v_fma_f32 v22, -v22, v25, v24
	v_div_fmas_f32 v22, v22, v23, v25
	v_div_fixup_f32 v4, v22, v4, s30
	s_and_saveexec_b64 s[0:1], s[8:9]
	s_cbranch_execz .LBB17_226
; %bb.225:                              ;   in Loop: Header=BB17_7 Depth=1
	s_waitcnt lgkmcnt(0)
	v_ashrrev_i32_e32 v23, 31, v21
	v_mov_b32_e32 v22, v21
	v_lshlrev_b64 v[22:23], 2, v[22:23]
	v_lshl_add_u64 v[22:23], s[22:23], 0, v[22:23]
	global_load_dword v24, v[22:23], off
	s_waitcnt vmcnt(0)
	v_mul_f32_e32 v24, v4, v24
	global_store_dword v[22:23], v24, off
.LBB17_226:                             ;   in Loop: Header=BB17_7 Depth=1
	s_or_b64 exec, exec, s[0:1]
	s_waitcnt lgkmcnt(0)
	v_add_u32_e32 v22, v20, v0
	v_cmp_lt_i32_e32 vcc, v22, v21
	s_and_saveexec_b64 s[0:1], vcc
	s_cbranch_execz .LBB17_4
; %bb.227:                              ;   in Loop: Header=BB17_7 Depth=1
	v_ashrrev_i32_e32 v23, 31, v22
	v_lshlrev_b64 v[24:25], 2, v[22:23]
	s_mov_b64 s[4:5], 0
.LBB17_228:                             ;   Parent Loop BB17_7 Depth=1
                                        ; =>  This Inner Loop Header: Depth=2
	v_lshl_add_u64 v[26:27], s[22:23], 0, v[24:25]
	global_load_dword v20, v[26:27], off
	v_lshl_add_u64 v[28:29], s[44:45], 0, v[24:25]
	v_add_u32_e32 v22, s34, v22
	v_cmp_ge_i32_e32 vcc, v22, v21
	v_lshl_add_u64 v[24:25], v[24:25], 0, s[52:53]
	s_or_b64 s[4:5], vcc, s[4:5]
	s_waitcnt vmcnt(0)
	v_mul_f32_e32 v20, v4, v20
	global_store_dword v[26:27], v20, off
	global_load_dword v20, v[28:29], off
	s_waitcnt vmcnt(0)
	v_mul_f32_e32 v20, v4, v20
	global_store_dword v[28:29], v20, off
	s_andn2_b64 exec, exec, s[4:5]
	s_cbranch_execnz .LBB17_228
	s_branch .LBB17_4
.LBB17_229:
	v_cmp_gt_i32_e32 vcc, s40, v0
	s_and_saveexec_b64 s[0:1], vcc
	s_cbranch_execz .LBB17_235
; %bb.230:
	s_lshl_b64 s[2:3], s[38:39], 2
	s_add_u32 s2, s18, s2
	s_addc_u32 s3, s19, s3
	s_lshl_b64 s[4:5], s[42:43], 2
	s_add_u32 s4, s24, s4
	v_ashrrev_i32_e32 v1, 31, v0
	s_addc_u32 s5, s25, s5
	s_ashr_i32 s35, s34, 31
	v_lshl_add_u64 v[2:3], v[0:1], 2, s[4:5]
	s_lshl_b64 s[4:5], s[34:35], 2
	s_mov_b64 s[6:7], 0
	v_mov_b32_e32 v1, 0
	s_branch .LBB17_232
.LBB17_231:                             ;   in Loop: Header=BB17_232 Depth=1
	s_or_b64 exec, exec, s[18:19]
	v_add_u32_e32 v0, s34, v0
	v_cmp_le_i32_e32 vcc, s40, v0
	s_or_b64 s[6:7], vcc, s[6:7]
	v_lshl_add_u64 v[2:3], v[2:3], 0, s[4:5]
	s_andn2_b64 exec, exec, s[6:7]
	s_cbranch_execz .LBB17_235
.LBB17_232:                             ; =>This Inner Loop Header: Depth=1
	global_load_dword v4, v[2:3], off
	s_waitcnt vmcnt(0)
	v_cmp_neq_f32_e32 vcc, 0, v4
	s_and_saveexec_b64 s[18:19], vcc
	s_cbranch_execz .LBB17_231
; %bb.233:                              ;   in Loop: Header=BB17_232 Depth=1
	s_mov_b64 s[24:25], exec
	v_mbcnt_lo_u32_b32 v4, s24, 0
	v_mbcnt_hi_u32_b32 v4, s25, v4
	v_cmp_eq_u32_e32 vcc, 0, v4
	s_and_b64 s[28:29], exec, vcc
	s_mov_b64 exec, s[28:29]
	s_cbranch_execz .LBB17_231
; %bb.234:                              ;   in Loop: Header=BB17_232 Depth=1
	s_bcnt1_i32_b64 s11, s[24:25]
	v_mov_b32_e32 v4, s11
	global_atomic_add v1, v4, s[2:3]
	s_branch .LBB17_231
.LBB17_235:
	s_or_b64 exec, exec, s[0:1]
	s_cmp_lt_i32 s10, 2
	s_cbranch_scc1 .LBB17_248
; %bb.236:
	s_add_u32 s0, s20, s36
	s_addc_u32 s1, s21, s37
	s_add_u32 s0, s0, 4
	s_addc_u32 s1, s1, 0
	s_lshl_b64 s[2:3], s[16:17], 3
	s_lshl_b64 s[4:5], s[26:27], 3
	s_add_u32 s2, s2, s4
	s_addc_u32 s3, s3, s5
	s_add_u32 s11, s12, s2
	s_addc_u32 s14, s13, s3
	s_mov_b32 s2, 1
	v_mov_b32_e32 v0, 0
	s_branch .LBB17_238
.LBB17_237:                             ;   in Loop: Header=BB17_238 Depth=1
	s_add_i32 s2, s2, 1
	s_add_u32 s0, s0, 4
	s_addc_u32 s1, s1, 0
	s_cmp_lg_u32 s2, s10
	s_barrier
	s_cbranch_scc0 .LBB17_248
.LBB17_238:                             ; =>This Loop Header: Depth=1
                                        ;     Child Loop BB17_241 Depth 2
                                        ;     Child Loop BB17_247 Depth 2
	s_and_saveexec_b64 s[4:5], s[8:9]
	s_cbranch_execz .LBB17_245
; %bb.239:                              ;   in Loop: Header=BB17_238 Depth=1
	s_ashr_i32 s3, s2, 31
	s_add_i32 s13, s2, -1
	s_lshl_b64 s[6:7], s[2:3], 2
	s_add_u32 s6, s22, s6
	s_addc_u32 s7, s23, s7
	global_load_dword v1, v0, s[6:7] offset:-4
	v_mov_b32_e32 v2, s13
	v_mov_b32_e32 v3, s13
	s_mov_b64 s[16:17], s[0:1]
	s_mov_b32 s3, s2
	s_mov_b32 s12, s13
	ds_write_b64 v0, v[2:3]
	s_waitcnt vmcnt(0)
	ds_write_b32 v0, v1 offset:8
	v_mov_b32_e32 v2, v1
	s_branch .LBB17_241
.LBB17_240:                             ;   in Loop: Header=BB17_241 Depth=2
	s_add_i32 s3, s3, 1
	s_add_u32 s16, s16, 4
	s_addc_u32 s17, s17, 0
	s_cmp_eq_u32 s10, s3
	s_cbranch_scc1 .LBB17_243
.LBB17_241:                             ;   Parent Loop BB17_238 Depth=1
                                        ; =>  This Inner Loop Header: Depth=2
	global_load_dword v3, v0, s[16:17]
	s_waitcnt vmcnt(0)
	v_cmp_nlt_f32_e32 vcc, v3, v2
	s_cbranch_vccnz .LBB17_240
; %bb.242:                              ;   in Loop: Header=BB17_241 Depth=2
	v_mov_b32_e32 v2, s3
	ds_write2_b32 v0, v2, v3 offset0:1 offset1:2
	s_mov_b32 s12, s3
	v_mov_b32_e32 v2, v3
	s_branch .LBB17_240
.LBB17_243:                             ;   in Loop: Header=BB17_238 Depth=1
	s_cmp_lg_u32 s12, s13
	s_cbranch_scc0 .LBB17_245
; %bb.244:                              ;   in Loop: Header=BB17_238 Depth=1
	s_ashr_i32 s13, s12, 31
	s_lshl_b64 s[12:13], s[12:13], 2
	s_add_u32 s12, s22, s12
	s_addc_u32 s13, s23, s13
	global_store_dword v0, v1, s[12:13]
	global_store_dword v0, v2, s[6:7] offset:-4
.LBB17_245:                             ;   in Loop: Header=BB17_238 Depth=1
	s_or_b64 exec, exec, s[4:5]
	s_waitcnt lgkmcnt(0)
	s_barrier
	ds_read_b64 v[2:3], v0
	s_waitcnt lgkmcnt(0)
	v_readfirstlane_b32 s3, v2
	v_readfirstlane_b32 s4, v3
	s_cmp_eq_u32 s4, s3
	s_cbranch_scc1 .LBB17_237
; %bb.246:                              ;   in Loop: Header=BB17_238 Depth=1
	s_mul_i32 s4, s4, s15
	s_ashr_i32 s5, s4, 31
	s_lshl_b64 s[4:5], s[4:5], 3
	s_mul_i32 s6, s3, s15
	s_add_u32 s4, s11, s4
	s_addc_u32 s5, s14, s5
	s_ashr_i32 s7, s6, 31
	s_lshl_b64 s[6:7], s[6:7], 3
	s_add_u32 s6, s11, s6
	s_addc_u32 s7, s14, s7
	s_mov_b32 s3, s10
.LBB17_247:                             ;   Parent Loop BB17_238 Depth=1
                                        ; =>  This Inner Loop Header: Depth=2
	global_load_dwordx2 v[2:3], v0, s[4:5]
	global_load_dwordx2 v[4:5], v0, s[6:7]
	s_add_i32 s3, s3, -1
	s_waitcnt vmcnt(1)
	global_store_dwordx2 v0, v[2:3], s[6:7]
	s_waitcnt vmcnt(1)
	global_store_dwordx2 v0, v[4:5], s[4:5]
	s_add_u32 s4, s4, 8
	s_addc_u32 s5, s5, 0
	s_add_u32 s6, s6, 8
	s_addc_u32 s7, s7, 0
	s_cmp_lg_u32 s3, 0
	s_cbranch_scc1 .LBB17_247
	s_branch .LBB17_237
.LBB17_248:
	s_endpgm
	.section	.rodata,"a",@progbits
	.p2align	6, 0x0
	.amdhsa_kernel _ZN9rocsolver6v33100L12steqr_kernelI19rocblas_complex_numIfEfPS3_EEviPT0_lS6_lT1_iilPiS6_iS5_S5_S5_
		.amdhsa_group_segment_fixed_size 36
		.amdhsa_private_segment_fixed_size 0
		.amdhsa_kernarg_size 352
		.amdhsa_user_sgpr_count 2
		.amdhsa_user_sgpr_dispatch_ptr 0
		.amdhsa_user_sgpr_queue_ptr 0
		.amdhsa_user_sgpr_kernarg_segment_ptr 1
		.amdhsa_user_sgpr_dispatch_id 0
		.amdhsa_user_sgpr_kernarg_preload_length 0
		.amdhsa_user_sgpr_kernarg_preload_offset 0
		.amdhsa_user_sgpr_private_segment_size 0
		.amdhsa_uses_dynamic_stack 0
		.amdhsa_enable_private_segment 0
		.amdhsa_system_sgpr_workgroup_id_x 1
		.amdhsa_system_sgpr_workgroup_id_y 1
		.amdhsa_system_sgpr_workgroup_id_z 0
		.amdhsa_system_sgpr_workgroup_info 0
		.amdhsa_system_vgpr_workitem_id 0
		.amdhsa_next_free_vgpr 64
		.amdhsa_next_free_sgpr 100
		.amdhsa_accum_offset 64
		.amdhsa_reserve_vcc 1
		.amdhsa_float_round_mode_32 0
		.amdhsa_float_round_mode_16_64 0
		.amdhsa_float_denorm_mode_32 3
		.amdhsa_float_denorm_mode_16_64 3
		.amdhsa_dx10_clamp 1
		.amdhsa_ieee_mode 1
		.amdhsa_fp16_overflow 0
		.amdhsa_tg_split 0
		.amdhsa_exception_fp_ieee_invalid_op 0
		.amdhsa_exception_fp_denorm_src 0
		.amdhsa_exception_fp_ieee_div_zero 0
		.amdhsa_exception_fp_ieee_overflow 0
		.amdhsa_exception_fp_ieee_underflow 0
		.amdhsa_exception_fp_ieee_inexact 0
		.amdhsa_exception_int_div_zero 0
	.end_amdhsa_kernel
	.section	.text._ZN9rocsolver6v33100L12steqr_kernelI19rocblas_complex_numIfEfPS3_EEviPT0_lS6_lT1_iilPiS6_iS5_S5_S5_,"axG",@progbits,_ZN9rocsolver6v33100L12steqr_kernelI19rocblas_complex_numIfEfPS3_EEviPT0_lS6_lT1_iilPiS6_iS5_S5_S5_,comdat
.Lfunc_end17:
	.size	_ZN9rocsolver6v33100L12steqr_kernelI19rocblas_complex_numIfEfPS3_EEviPT0_lS6_lT1_iilPiS6_iS5_S5_S5_, .Lfunc_end17-_ZN9rocsolver6v33100L12steqr_kernelI19rocblas_complex_numIfEfPS3_EEviPT0_lS6_lT1_iilPiS6_iS5_S5_S5_
                                        ; -- End function
	.set _ZN9rocsolver6v33100L12steqr_kernelI19rocblas_complex_numIfEfPS3_EEviPT0_lS6_lT1_iilPiS6_iS5_S5_S5_.num_vgpr, 64
	.set _ZN9rocsolver6v33100L12steqr_kernelI19rocblas_complex_numIfEfPS3_EEviPT0_lS6_lT1_iilPiS6_iS5_S5_S5_.num_agpr, 0
	.set _ZN9rocsolver6v33100L12steqr_kernelI19rocblas_complex_numIfEfPS3_EEviPT0_lS6_lT1_iilPiS6_iS5_S5_S5_.numbered_sgpr, 100
	.set _ZN9rocsolver6v33100L12steqr_kernelI19rocblas_complex_numIfEfPS3_EEviPT0_lS6_lT1_iilPiS6_iS5_S5_S5_.num_named_barrier, 0
	.set _ZN9rocsolver6v33100L12steqr_kernelI19rocblas_complex_numIfEfPS3_EEviPT0_lS6_lT1_iilPiS6_iS5_S5_S5_.private_seg_size, 0
	.set _ZN9rocsolver6v33100L12steqr_kernelI19rocblas_complex_numIfEfPS3_EEviPT0_lS6_lT1_iilPiS6_iS5_S5_S5_.uses_vcc, 1
	.set _ZN9rocsolver6v33100L12steqr_kernelI19rocblas_complex_numIfEfPS3_EEviPT0_lS6_lT1_iilPiS6_iS5_S5_S5_.uses_flat_scratch, 0
	.set _ZN9rocsolver6v33100L12steqr_kernelI19rocblas_complex_numIfEfPS3_EEviPT0_lS6_lT1_iilPiS6_iS5_S5_S5_.has_dyn_sized_stack, 0
	.set _ZN9rocsolver6v33100L12steqr_kernelI19rocblas_complex_numIfEfPS3_EEviPT0_lS6_lT1_iilPiS6_iS5_S5_S5_.has_recursion, 0
	.set _ZN9rocsolver6v33100L12steqr_kernelI19rocblas_complex_numIfEfPS3_EEviPT0_lS6_lT1_iilPiS6_iS5_S5_S5_.has_indirect_call, 0
	.section	.AMDGPU.csdata,"",@progbits
; Kernel info:
; codeLenInByte = 13276
; TotalNumSgprs: 106
; NumVgprs: 64
; NumAgprs: 0
; TotalNumVgprs: 64
; ScratchSize: 0
; MemoryBound: 0
; FloatMode: 240
; IeeeMode: 1
; LDSByteSize: 36 bytes/workgroup (compile time only)
; SGPRBlocks: 13
; VGPRBlocks: 7
; NumSGPRsForWavesPerEU: 106
; NumVGPRsForWavesPerEU: 64
; AccumOffset: 64
; Occupancy: 7
; WaveLimiterHint : 0
; COMPUTE_PGM_RSRC2:SCRATCH_EN: 0
; COMPUTE_PGM_RSRC2:USER_SGPR: 2
; COMPUTE_PGM_RSRC2:TRAP_HANDLER: 0
; COMPUTE_PGM_RSRC2:TGID_X_EN: 1
; COMPUTE_PGM_RSRC2:TGID_Y_EN: 1
; COMPUTE_PGM_RSRC2:TGID_Z_EN: 0
; COMPUTE_PGM_RSRC2:TIDIG_COMP_CNT: 0
; COMPUTE_PGM_RSRC3_GFX90A:ACCUM_OFFSET: 15
; COMPUTE_PGM_RSRC3_GFX90A:TG_SPLIT: 0
	.section	.text._ZN9rocsolver6v33100L16reset_batch_infoI19rocblas_complex_numIdEiiPS3_EEvT2_lT0_T1_,"axG",@progbits,_ZN9rocsolver6v33100L16reset_batch_infoI19rocblas_complex_numIdEiiPS3_EEvT2_lT0_T1_,comdat
	.globl	_ZN9rocsolver6v33100L16reset_batch_infoI19rocblas_complex_numIdEiiPS3_EEvT2_lT0_T1_ ; -- Begin function _ZN9rocsolver6v33100L16reset_batch_infoI19rocblas_complex_numIdEiiPS3_EEvT2_lT0_T1_
	.p2align	8
	.type	_ZN9rocsolver6v33100L16reset_batch_infoI19rocblas_complex_numIdEiiPS3_EEvT2_lT0_T1_,@function
_ZN9rocsolver6v33100L16reset_batch_infoI19rocblas_complex_numIdEiiPS3_EEvT2_lT0_T1_: ; @_ZN9rocsolver6v33100L16reset_batch_infoI19rocblas_complex_numIdEiiPS3_EEvT2_lT0_T1_
; %bb.0:
	s_load_dword s6, s[0:1], 0x24
	s_load_dwordx2 s[4:5], s[0:1], 0x10
	s_waitcnt lgkmcnt(0)
	s_and_b32 s6, s6, 0xffff
	s_mul_i32 s2, s2, s6
	v_add_u32_e32 v0, s2, v0
	v_cmp_gt_i32_e32 vcc, s4, v0
	s_and_saveexec_b64 s[6:7], vcc
	s_cbranch_execz .LBB18_2
; %bb.1:
	s_load_dwordx4 s[8:11], s[0:1], 0x0
	s_ashr_i32 s0, s3, 31
	v_ashrrev_i32_e32 v1, 31, v0
	v_mov_b32_e32 v2, 0
	v_mov_b32_e32 v3, v2
	s_waitcnt lgkmcnt(0)
	s_mul_hi_u32 s1, s10, s3
	s_mul_i32 s2, s10, s0
	s_mul_i32 s4, s11, s3
	s_add_i32 s1, s1, s2
	s_mul_i32 s0, s10, s3
	s_add_i32 s1, s1, s4
	s_lshl_b64 s[0:1], s[0:1], 4
	s_add_u32 s0, s8, s0
	s_addc_u32 s1, s9, s1
	v_lshl_add_u64 v[4:5], v[0:1], 4, s[0:1]
	v_cvt_f64_i32_e32 v[0:1], s5
	global_store_dwordx4 v[4:5], v[0:3], off
.LBB18_2:
	s_endpgm
	.section	.rodata,"a",@progbits
	.p2align	6, 0x0
	.amdhsa_kernel _ZN9rocsolver6v33100L16reset_batch_infoI19rocblas_complex_numIdEiiPS3_EEvT2_lT0_T1_
		.amdhsa_group_segment_fixed_size 0
		.amdhsa_private_segment_fixed_size 0
		.amdhsa_kernarg_size 280
		.amdhsa_user_sgpr_count 2
		.amdhsa_user_sgpr_dispatch_ptr 0
		.amdhsa_user_sgpr_queue_ptr 0
		.amdhsa_user_sgpr_kernarg_segment_ptr 1
		.amdhsa_user_sgpr_dispatch_id 0
		.amdhsa_user_sgpr_kernarg_preload_length 0
		.amdhsa_user_sgpr_kernarg_preload_offset 0
		.amdhsa_user_sgpr_private_segment_size 0
		.amdhsa_uses_dynamic_stack 0
		.amdhsa_enable_private_segment 0
		.amdhsa_system_sgpr_workgroup_id_x 1
		.amdhsa_system_sgpr_workgroup_id_y 1
		.amdhsa_system_sgpr_workgroup_id_z 0
		.amdhsa_system_sgpr_workgroup_info 0
		.amdhsa_system_vgpr_workitem_id 0
		.amdhsa_next_free_vgpr 6
		.amdhsa_next_free_sgpr 12
		.amdhsa_accum_offset 8
		.amdhsa_reserve_vcc 1
		.amdhsa_float_round_mode_32 0
		.amdhsa_float_round_mode_16_64 0
		.amdhsa_float_denorm_mode_32 3
		.amdhsa_float_denorm_mode_16_64 3
		.amdhsa_dx10_clamp 1
		.amdhsa_ieee_mode 1
		.amdhsa_fp16_overflow 0
		.amdhsa_tg_split 0
		.amdhsa_exception_fp_ieee_invalid_op 0
		.amdhsa_exception_fp_denorm_src 0
		.amdhsa_exception_fp_ieee_div_zero 0
		.amdhsa_exception_fp_ieee_overflow 0
		.amdhsa_exception_fp_ieee_underflow 0
		.amdhsa_exception_fp_ieee_inexact 0
		.amdhsa_exception_int_div_zero 0
	.end_amdhsa_kernel
	.section	.text._ZN9rocsolver6v33100L16reset_batch_infoI19rocblas_complex_numIdEiiPS3_EEvT2_lT0_T1_,"axG",@progbits,_ZN9rocsolver6v33100L16reset_batch_infoI19rocblas_complex_numIdEiiPS3_EEvT2_lT0_T1_,comdat
.Lfunc_end18:
	.size	_ZN9rocsolver6v33100L16reset_batch_infoI19rocblas_complex_numIdEiiPS3_EEvT2_lT0_T1_, .Lfunc_end18-_ZN9rocsolver6v33100L16reset_batch_infoI19rocblas_complex_numIdEiiPS3_EEvT2_lT0_T1_
                                        ; -- End function
	.set _ZN9rocsolver6v33100L16reset_batch_infoI19rocblas_complex_numIdEiiPS3_EEvT2_lT0_T1_.num_vgpr, 6
	.set _ZN9rocsolver6v33100L16reset_batch_infoI19rocblas_complex_numIdEiiPS3_EEvT2_lT0_T1_.num_agpr, 0
	.set _ZN9rocsolver6v33100L16reset_batch_infoI19rocblas_complex_numIdEiiPS3_EEvT2_lT0_T1_.numbered_sgpr, 12
	.set _ZN9rocsolver6v33100L16reset_batch_infoI19rocblas_complex_numIdEiiPS3_EEvT2_lT0_T1_.num_named_barrier, 0
	.set _ZN9rocsolver6v33100L16reset_batch_infoI19rocblas_complex_numIdEiiPS3_EEvT2_lT0_T1_.private_seg_size, 0
	.set _ZN9rocsolver6v33100L16reset_batch_infoI19rocblas_complex_numIdEiiPS3_EEvT2_lT0_T1_.uses_vcc, 1
	.set _ZN9rocsolver6v33100L16reset_batch_infoI19rocblas_complex_numIdEiiPS3_EEvT2_lT0_T1_.uses_flat_scratch, 0
	.set _ZN9rocsolver6v33100L16reset_batch_infoI19rocblas_complex_numIdEiiPS3_EEvT2_lT0_T1_.has_dyn_sized_stack, 0
	.set _ZN9rocsolver6v33100L16reset_batch_infoI19rocblas_complex_numIdEiiPS3_EEvT2_lT0_T1_.has_recursion, 0
	.set _ZN9rocsolver6v33100L16reset_batch_infoI19rocblas_complex_numIdEiiPS3_EEvT2_lT0_T1_.has_indirect_call, 0
	.section	.AMDGPU.csdata,"",@progbits
; Kernel info:
; codeLenInByte = 136
; TotalNumSgprs: 18
; NumVgprs: 6
; NumAgprs: 0
; TotalNumVgprs: 6
; ScratchSize: 0
; MemoryBound: 0
; FloatMode: 240
; IeeeMode: 1
; LDSByteSize: 0 bytes/workgroup (compile time only)
; SGPRBlocks: 2
; VGPRBlocks: 0
; NumSGPRsForWavesPerEU: 18
; NumVGPRsForWavesPerEU: 6
; AccumOffset: 8
; Occupancy: 8
; WaveLimiterHint : 0
; COMPUTE_PGM_RSRC2:SCRATCH_EN: 0
; COMPUTE_PGM_RSRC2:USER_SGPR: 2
; COMPUTE_PGM_RSRC2:TRAP_HANDLER: 0
; COMPUTE_PGM_RSRC2:TGID_X_EN: 1
; COMPUTE_PGM_RSRC2:TGID_Y_EN: 1
; COMPUTE_PGM_RSRC2:TGID_Z_EN: 0
; COMPUTE_PGM_RSRC2:TIDIG_COMP_CNT: 0
; COMPUTE_PGM_RSRC3_GFX90A:ACCUM_OFFSET: 1
; COMPUTE_PGM_RSRC3_GFX90A:TG_SPLIT: 0
	.section	.text._ZN9rocsolver6v33100L10init_identI19rocblas_complex_numIdEPS3_EEviiT0_iil,"axG",@progbits,_ZN9rocsolver6v33100L10init_identI19rocblas_complex_numIdEPS3_EEviiT0_iil,comdat
	.globl	_ZN9rocsolver6v33100L10init_identI19rocblas_complex_numIdEPS3_EEviiT0_iil ; -- Begin function _ZN9rocsolver6v33100L10init_identI19rocblas_complex_numIdEPS3_EEviiT0_iil
	.p2align	8
	.type	_ZN9rocsolver6v33100L10init_identI19rocblas_complex_numIdEPS3_EEviiT0_iil,@function
_ZN9rocsolver6v33100L10init_identI19rocblas_complex_numIdEPS3_EEviiT0_iil: ; @_ZN9rocsolver6v33100L10init_identI19rocblas_complex_numIdEPS3_EEviiT0_iil
; %bb.0:
	s_load_dword s5, s[0:1], 0x2c
	s_load_dwordx2 s[6:7], s[0:1], 0x0
	v_and_b32_e32 v1, 0x3ff, v0
	v_bfe_u32 v0, v0, 10, 10
	s_waitcnt lgkmcnt(0)
	s_lshr_b32 s8, s5, 16
	s_and_b32 s5, s5, 0xffff
	s_mul_i32 s2, s2, s5
	s_mul_i32 s3, s3, s8
	v_add_u32_e32 v4, s2, v1
	v_add_u32_e32 v0, s3, v0
	v_cmp_gt_u32_e32 vcc, s6, v4
	v_cmp_gt_u32_e64 s[2:3], s7, v0
	s_and_b64 s[2:3], vcc, s[2:3]
	s_and_saveexec_b64 s[6:7], s[2:3]
	s_cbranch_execz .LBB19_6
; %bb.1:
	s_load_dwordx2 s[2:3], s[0:1], 0x10
	v_cmp_ne_u32_e32 vcc, v4, v0
                                        ; implicit-def: $vgpr2
	s_and_saveexec_b64 s[6:7], vcc
	s_xor_b64 s[6:7], exec, s[6:7]
	s_cbranch_execz .LBB19_3
; %bb.2:
	s_waitcnt lgkmcnt(0)
	v_mad_u64_u32 v[2:3], s[8:9], v0, s3, v[4:5]
                                        ; implicit-def: $vgpr4
.LBB19_3:
	s_or_saveexec_b64 s[6:7], s[6:7]
	v_mov_b64_e32 v[0:1], 0
	s_xor_b64 exec, exec, s[6:7]
	s_cbranch_execz .LBB19_5
; %bb.4:
	s_waitcnt lgkmcnt(0)
	v_mad_u64_u32 v[2:3], s[8:9], v4, s3, v[4:5]
	v_mov_b64_e32 v[0:1], 1.0
.LBB19_5:
	s_or_b64 exec, exec, s[6:7]
	s_load_dwordx2 s[6:7], s[0:1], 0x18
	s_load_dwordx2 s[8:9], s[0:1], 0x8
	s_waitcnt lgkmcnt(0)
	s_ashr_i32 s3, s2, 31
	v_mov_b32_e32 v3, 0
	s_mul_i32 s1, s7, s4
	s_mul_hi_u32 s5, s6, s4
	s_mul_i32 s0, s6, s4
	s_add_i32 s1, s5, s1
	s_lshl_b64 s[0:1], s[0:1], 4
	s_add_u32 s4, s8, s0
	s_addc_u32 s5, s9, s1
	s_lshl_b64 s[0:1], s[2:3], 4
	s_add_u32 s0, s4, s0
	s_addc_u32 s1, s5, s1
	v_lshl_add_u64 v[4:5], v[2:3], 4, s[0:1]
	v_mov_b32_e32 v2, v3
	global_store_dwordx4 v[4:5], v[0:3], off
.LBB19_6:
	s_endpgm
	.section	.rodata,"a",@progbits
	.p2align	6, 0x0
	.amdhsa_kernel _ZN9rocsolver6v33100L10init_identI19rocblas_complex_numIdEPS3_EEviiT0_iil
		.amdhsa_group_segment_fixed_size 0
		.amdhsa_private_segment_fixed_size 0
		.amdhsa_kernarg_size 288
		.amdhsa_user_sgpr_count 2
		.amdhsa_user_sgpr_dispatch_ptr 0
		.amdhsa_user_sgpr_queue_ptr 0
		.amdhsa_user_sgpr_kernarg_segment_ptr 1
		.amdhsa_user_sgpr_dispatch_id 0
		.amdhsa_user_sgpr_kernarg_preload_length 0
		.amdhsa_user_sgpr_kernarg_preload_offset 0
		.amdhsa_user_sgpr_private_segment_size 0
		.amdhsa_uses_dynamic_stack 0
		.amdhsa_enable_private_segment 0
		.amdhsa_system_sgpr_workgroup_id_x 1
		.amdhsa_system_sgpr_workgroup_id_y 1
		.amdhsa_system_sgpr_workgroup_id_z 1
		.amdhsa_system_sgpr_workgroup_info 0
		.amdhsa_system_vgpr_workitem_id 1
		.amdhsa_next_free_vgpr 6
		.amdhsa_next_free_sgpr 10
		.amdhsa_accum_offset 8
		.amdhsa_reserve_vcc 1
		.amdhsa_float_round_mode_32 0
		.amdhsa_float_round_mode_16_64 0
		.amdhsa_float_denorm_mode_32 3
		.amdhsa_float_denorm_mode_16_64 3
		.amdhsa_dx10_clamp 1
		.amdhsa_ieee_mode 1
		.amdhsa_fp16_overflow 0
		.amdhsa_tg_split 0
		.amdhsa_exception_fp_ieee_invalid_op 0
		.amdhsa_exception_fp_denorm_src 0
		.amdhsa_exception_fp_ieee_div_zero 0
		.amdhsa_exception_fp_ieee_overflow 0
		.amdhsa_exception_fp_ieee_underflow 0
		.amdhsa_exception_fp_ieee_inexact 0
		.amdhsa_exception_int_div_zero 0
	.end_amdhsa_kernel
	.section	.text._ZN9rocsolver6v33100L10init_identI19rocblas_complex_numIdEPS3_EEviiT0_iil,"axG",@progbits,_ZN9rocsolver6v33100L10init_identI19rocblas_complex_numIdEPS3_EEviiT0_iil,comdat
.Lfunc_end19:
	.size	_ZN9rocsolver6v33100L10init_identI19rocblas_complex_numIdEPS3_EEviiT0_iil, .Lfunc_end19-_ZN9rocsolver6v33100L10init_identI19rocblas_complex_numIdEPS3_EEviiT0_iil
                                        ; -- End function
	.set _ZN9rocsolver6v33100L10init_identI19rocblas_complex_numIdEPS3_EEviiT0_iil.num_vgpr, 6
	.set _ZN9rocsolver6v33100L10init_identI19rocblas_complex_numIdEPS3_EEviiT0_iil.num_agpr, 0
	.set _ZN9rocsolver6v33100L10init_identI19rocblas_complex_numIdEPS3_EEviiT0_iil.numbered_sgpr, 10
	.set _ZN9rocsolver6v33100L10init_identI19rocblas_complex_numIdEPS3_EEviiT0_iil.num_named_barrier, 0
	.set _ZN9rocsolver6v33100L10init_identI19rocblas_complex_numIdEPS3_EEviiT0_iil.private_seg_size, 0
	.set _ZN9rocsolver6v33100L10init_identI19rocblas_complex_numIdEPS3_EEviiT0_iil.uses_vcc, 1
	.set _ZN9rocsolver6v33100L10init_identI19rocblas_complex_numIdEPS3_EEviiT0_iil.uses_flat_scratch, 0
	.set _ZN9rocsolver6v33100L10init_identI19rocblas_complex_numIdEPS3_EEviiT0_iil.has_dyn_sized_stack, 0
	.set _ZN9rocsolver6v33100L10init_identI19rocblas_complex_numIdEPS3_EEviiT0_iil.has_recursion, 0
	.set _ZN9rocsolver6v33100L10init_identI19rocblas_complex_numIdEPS3_EEviiT0_iil.has_indirect_call, 0
	.section	.AMDGPU.csdata,"",@progbits
; Kernel info:
; codeLenInByte = 252
; TotalNumSgprs: 16
; NumVgprs: 6
; NumAgprs: 0
; TotalNumVgprs: 6
; ScratchSize: 0
; MemoryBound: 0
; FloatMode: 240
; IeeeMode: 1
; LDSByteSize: 0 bytes/workgroup (compile time only)
; SGPRBlocks: 1
; VGPRBlocks: 0
; NumSGPRsForWavesPerEU: 16
; NumVGPRsForWavesPerEU: 6
; AccumOffset: 8
; Occupancy: 8
; WaveLimiterHint : 0
; COMPUTE_PGM_RSRC2:SCRATCH_EN: 0
; COMPUTE_PGM_RSRC2:USER_SGPR: 2
; COMPUTE_PGM_RSRC2:TRAP_HANDLER: 0
; COMPUTE_PGM_RSRC2:TGID_X_EN: 1
; COMPUTE_PGM_RSRC2:TGID_Y_EN: 1
; COMPUTE_PGM_RSRC2:TGID_Z_EN: 1
; COMPUTE_PGM_RSRC2:TIDIG_COMP_CNT: 1
; COMPUTE_PGM_RSRC3_GFX90A:ACCUM_OFFSET: 1
; COMPUTE_PGM_RSRC3_GFX90A:TG_SPLIT: 0
	.section	.text._ZN9rocsolver6v33100L11lasr_kernelI19rocblas_complex_numIdEdPS3_iEEv13rocblas_side_14rocblas_pivot_15rocblas_direct_T2_S8_PT0_lSA_lT1_lS8_lS8_,"axG",@progbits,_ZN9rocsolver6v33100L11lasr_kernelI19rocblas_complex_numIdEdPS3_iEEv13rocblas_side_14rocblas_pivot_15rocblas_direct_T2_S8_PT0_lSA_lT1_lS8_lS8_,comdat
	.globl	_ZN9rocsolver6v33100L11lasr_kernelI19rocblas_complex_numIdEdPS3_iEEv13rocblas_side_14rocblas_pivot_15rocblas_direct_T2_S8_PT0_lSA_lT1_lS8_lS8_ ; -- Begin function _ZN9rocsolver6v33100L11lasr_kernelI19rocblas_complex_numIdEdPS3_iEEv13rocblas_side_14rocblas_pivot_15rocblas_direct_T2_S8_PT0_lSA_lT1_lS8_lS8_
	.p2align	8
	.type	_ZN9rocsolver6v33100L11lasr_kernelI19rocblas_complex_numIdEdPS3_iEEv13rocblas_side_14rocblas_pivot_15rocblas_direct_T2_S8_PT0_lSA_lT1_lS8_lS8_,@function
_ZN9rocsolver6v33100L11lasr_kernelI19rocblas_complex_numIdEdPS3_iEEv13rocblas_side_14rocblas_pivot_15rocblas_direct_T2_S8_PT0_lSA_lT1_lS8_lS8_: ; @_ZN9rocsolver6v33100L11lasr_kernelI19rocblas_complex_numIdEdPS3_iEEv13rocblas_side_14rocblas_pivot_15rocblas_direct_T2_S8_PT0_lSA_lT1_lS8_lS8_
; %bb.0:
	s_load_dword s33, s[0:1], 0x58
	s_waitcnt lgkmcnt(0)
	s_cmp_ge_u32 s3, s33
	s_cbranch_scc1 .LBB20_108
; %bb.1:
	s_load_dwordx4 s[16:19], s[0:1], 0x38
	s_load_dword s20, s[0:1], 0x48
	s_load_dwordx2 s[22:23], s[0:1], 0x68
	s_load_dwordx4 s[4:7], s[0:1], 0x0
	s_load_dword s48, s[0:1], 0x10
	s_load_dwordx8 s[8:15], s[0:1], 0x18
	s_waitcnt lgkmcnt(0)
	s_ashr_i32 s21, s20, 31
	s_and_b32 s60, s23, 0xffff
	s_lshl_b64 s[72:73], s[18:19], 4
	s_add_u32 s18, s16, s72
	s_addc_u32 s19, s17, s73
	s_cmpk_eq_i32 s4, 0x8d
	s_cselect_b64 s[34:35], -1, 0
	s_cmpk_eq_i32 s4, 0x8e
	s_cselect_b64 s[42:43], -1, 0
	;; [unrolled: 2-line block ×7, first 2 shown]
	s_and_b64 s[30:31], s[34:35], s[4:5]
	s_and_b64 s[4:5], s[42:43], s[4:5]
	;; [unrolled: 1-line block ×3, first 2 shown]
	s_xor_b64 s[52:53], s[52:53], -1
                                        ; implicit-def: $vgpr56 : SGPR spill to VGPR lane
	s_and_b64 s[4:5], s[4:5], s[50:51]
	v_writelane_b32 v56, s52, 0
	s_xor_b64 s[4:5], s[4:5], -1
	s_and_b64 s[40:41], s[42:43], s[38:39]
	v_writelane_b32 v56, s53, 1
	v_writelane_b32 v56, s4, 2
	s_and_b64 s[42:43], s[42:43], s[44:45]
	s_mul_i32 s2, s2, s60
	v_writelane_b32 v56, s5, 3
	s_and_b64 s[4:5], s[42:43], s[46:47]
	s_xor_b64 s[4:5], s[4:5], -1
	v_add_u32_e32 v4, s2, v0
	v_writelane_b32 v56, s4, 4
	s_and_b64 s[26:27], s[34:35], s[38:39]
	s_and_b64 s[36:37], s[34:35], s[44:45]
	v_writelane_b32 v56, s5, 5
	v_cmp_gt_i32_e64 s[4:5], s7, v4
	s_and_b64 s[24:25], s[26:27], s[46:47]
	s_and_b64 s[26:27], s[26:27], s[50:51]
	s_and_b64 s[28:29], s[30:31], s[46:47]
	s_and_b64 s[30:31], s[30:31], s[50:51]
	s_and_b64 s[34:35], s[36:37], s[46:47]
	s_and_b64 s[36:37], s[36:37], s[50:51]
	s_and_b64 s[38:39], s[40:41], s[46:47]
	s_and_b64 s[40:41], s[40:41], s[50:51]
	s_and_b64 s[44:45], s[50:51], s[4:5]
	s_xor_b64 s[24:25], s[24:25], -1
	s_xor_b64 s[26:27], s[26:27], -1
	;; [unrolled: 1-line block ×8, first 2 shown]
	s_and_b64 s[42:43], s[42:43], s[44:45]
	s_add_i32 s2, s48, -1
	s_add_i32 s50, s48, -2
	v_writelane_b32 v56, s42, 6
	s_cmp_gt_i32 s48, 1
	s_cselect_b64 s[52:53], -1, 0
	v_writelane_b32 v56, s43, 7
	s_ashr_i32 s55, s7, 31
	s_add_i32 s42, s7, -2
	s_cmp_gt_i32 s7, 1
	s_mov_b32 s51, 0
	s_cselect_b64 s[56:57], -1, 0
	s_lshl_b64 s[44:45], s[50:51], 3
	s_add_u32 s6, s8, s44
	s_addc_u32 s23, s9, s45
	s_lshl_b64 s[10:11], s[10:11], 3
	s_load_dword s54, s[0:1], 0x60
	s_load_dwordx2 s[58:59], s[0:1], 0x50
	s_add_u32 s49, s12, s44
	s_mul_i32 s43, s21, s50
	s_mul_hi_u32 s44, s20, s50
	s_addc_u32 s46, s13, s45
	s_add_i32 s45, s44, s43
	s_mul_i32 s44, s20, s50
	s_lshl_b64 s[14:15], s[14:15], 3
	s_lshl_b64 s[44:45], s[44:45], 4
	s_add_u32 s43, s44, s72
	s_addc_u32 s44, s45, s73
	s_add_u32 s0, s16, s43
	s_waitcnt lgkmcnt(0)
	s_mul_i32 s60, s54, s60
	s_addc_u32 s1, s17, s44
	s_ashr_i32 s61, s60, 31
	s_lshl_b64 s[62:63], s[58:59], 4
	s_lshl_b64 s[64:65], s[60:61], 4
	;; [unrolled: 1-line block ×3, first 2 shown]
	s_sub_u32 s68, 0, s66
	s_mul_i32 s21, s21, s2
	s_mul_hi_u32 s43, s20, s2
	s_mul_i32 s70, s20, s2
	s_subb_u32 s69, 0, s67
	s_add_i32 s45, s43, s21
	s_mov_b32 s44, s70
	s_lshl_b64 s[44:45], s[44:45], 4
	s_add_i32 s21, s48, 1
	s_add_u32 s43, s44, s72
	s_addc_u32 s44, s45, s73
	s_add_u32 s74, s16, s43
	s_addc_u32 s75, s17, s44
	v_mad_i64_i32 v[0:1], s[44:45], s20, v4, 0
	s_add_u32 s43, s72, s66
	s_addc_u32 s44, s73, s67
	s_add_u32 s76, s16, s43
	s_mov_b32 s43, s51
	s_addc_u32 s77, s17, s44
	s_add_i32 s50, s7, -1
	s_lshl_b64 s[44:45], s[42:43], 3
	s_add_u32 s47, s8, s44
	s_addc_u32 s61, s9, s45
	s_add_u32 s44, s12, s44
	s_addc_u32 s45, s13, s45
	s_lshl_b64 s[42:43], s[42:43], 4
	s_add_u32 s78, s16, s42
	s_addc_u32 s79, s17, s43
	s_mul_hi_i32 s43, s20, s60
	s_mul_i32 s42, s20, s60
	v_lshl_add_u64 v[0:1], v[0:1], 4, s[72:73]
	s_lshl_b64 s[72:73], s[42:43], 4
	s_add_i32 s42, s7, 1
	s_lshl_b64 s[80:81], s[50:51], 4
	s_add_u32 s80, s16, s80
	v_ashrrev_i32_e32 v5, 31, v4
	s_addc_u32 s81, s17, s81
	v_lshlrev_b64 v[12:13], 4, v[4:5]
	v_lshl_add_u64 v[2:3], s[16:17], 0, v[0:1]
	v_lshl_add_u64 v[6:7], s[0:1], 0, v[12:13]
	;; [unrolled: 1-line block ×7, first 2 shown]
	s_mul_hi_i32 s71, s20, s2
	s_mov_b32 s54, s7
	v_lshl_add_u64 v[10:11], v[6:7], 0, 8
	v_lshl_add_u64 v[12:13], v[12:13], 0, 8
	v_lshl_add_u64 v[14:15], v[14:15], 0, 8
	v_lshl_add_u64 v[16:17], v[16:17], 0, 8
	v_lshl_add_u64 v[18:19], v[8:9], 0, 8
	v_lshl_add_u64 v[20:21], v[2:3], 0, 8
	v_lshl_add_u64 v[22:23], v[0:1], 0, 8
	v_lshl_add_u64 v[24:25], v[2:3], 0, 16
	v_lshl_add_u64 v[26:27], v[2:3], 0, 24
	v_mov_b32_e32 v5, 0
	v_cmp_gt_i32_e64 s[0:1], s48, v4
	s_branch .LBB20_4
.LBB20_2:                               ;   in Loop: Header=BB20_4 Depth=1
	s_or_b64 exec, exec, s[80:81]
.LBB20_3:                               ;   in Loop: Header=BB20_4 Depth=1
	s_add_i32 s3, s3, s22
	s_cmp_ge_u32 s3, s33
	s_cbranch_scc1 .LBB20_108
.LBB20_4:                               ; =>This Loop Header: Depth=1
                                        ;     Child Loop BB20_19 Depth 2
                                        ;       Child Loop BB20_20 Depth 3
                                        ;     Child Loop BB20_26 Depth 2
                                        ;       Child Loop BB20_27 Depth 3
	;; [unrolled: 2-line block ×12, first 2 shown]
	s_mul_i32 s16, s15, s3
	s_mul_hi_u32 s17, s14, s3
	s_add_i32 s43, s17, s16
	s_mul_i32 s51, s14, s3
	s_add_u32 s16, s12, s51
	s_mul_i32 s74, s11, s3
	s_mul_hi_u32 s75, s10, s3
	s_addc_u32 s17, s13, s43
	s_add_i32 s86, s75, s74
	s_mul_i32 s87, s10, s3
	s_add_u32 s74, s8, s87
	s_mul_i32 s76, s63, s3
	s_mul_hi_u32 s77, s62, s3
	s_addc_u32 s75, s9, s86
	s_add_i32 s79, s77, s76
	s_mul_i32 s76, s59, s3
	s_mul_hi_u32 s77, s58, s3
	s_add_i32 s77, s77, s76
	s_mul_i32 s76, s58, s3
	s_lshl_b64 s[76:77], s[76:77], 4
	s_add_u32 s76, s18, s76
	s_mul_i32 s78, s62, s3
	s_addc_u32 s77, s19, s77
	s_and_b64 vcc, exec, s[24:25]
	s_mov_b64 s[80:81], -1
	s_cbranch_vccnz .LBB20_6
; %bb.5:                                ;   in Loop: Header=BB20_4 Depth=1
	s_andn2_b64 vcc, exec, s[80:81]
	s_cbranch_vccnz .LBB20_3
	s_branch .LBB20_103
.LBB20_6:                               ;   in Loop: Header=BB20_4 Depth=1
	s_add_u32 s80, s47, s87
	s_addc_u32 s81, s61, s86
	s_add_u32 s82, s44, s51
	s_addc_u32 s83, s45, s43
	s_mov_b64 s[84:85], -1
	s_and_b64 vcc, exec, s[26:27]
	s_cbranch_vccz .LBB20_95
; %bb.7:                                ;   in Loop: Header=BB20_4 Depth=1
	s_and_b64 vcc, exec, s[28:29]
	s_cbranch_vccz .LBB20_87
; %bb.8:                                ;   in Loop: Header=BB20_4 Depth=1
	;; [unrolled: 3-line block ×3, first 2 shown]
	s_and_b64 vcc, exec, s[34:35]
	s_cbranch_vccz .LBB20_71
; %bb.10:                               ;   in Loop: Header=BB20_4 Depth=1
	s_and_b64 vcc, exec, s[36:37]
	s_cbranch_vccz .LBB20_63
; %bb.11:                               ;   in Loop: Header=BB20_4 Depth=1
	v_lshl_add_u64 v[28:29], v[12:13], 0, s[78:79]
	s_and_b64 vcc, exec, s[38:39]
	s_cbranch_vccz .LBB20_55
; %bb.12:                               ;   in Loop: Header=BB20_4 Depth=1
	s_add_u32 s84, s6, s87
	s_addc_u32 s85, s23, s86
	s_add_u32 s86, s49, s51
	v_lshl_add_u64 v[30:31], v[14:15], 0, s[78:79]
	s_addc_u32 s87, s46, s43
	s_mov_b64 s[88:89], -1
	s_and_b64 vcc, exec, s[40:41]
	s_cbranch_vccz .LBB20_46
; %bb.13:                               ;   in Loop: Header=BB20_4 Depth=1
	v_readlane_b32 s90, v56, 0
	v_readlane_b32 s91, v56, 1
	s_and_b64 vcc, exec, s[90:91]
	s_cbranch_vccz .LBB20_38
; %bb.14:                               ;   in Loop: Header=BB20_4 Depth=1
	v_readlane_b32 s90, v56, 2
	v_readlane_b32 s91, v56, 3
	;; [unrolled: 5-line block ×3, first 2 shown]
	s_and_b64 vcc, exec, s[90:91]
	s_cbranch_vccz .LBB20_22
; %bb.16:                               ;   in Loop: Header=BB20_4 Depth=1
	s_mov_b64 s[88:89], exec
	v_readlane_b32 s90, v56, 6
	v_readlane_b32 s91, v56, 7
	s_and_b64 s[90:91], s[88:89], s[90:91]
	s_mov_b64 exec, s[90:91]
	s_cbranch_execz .LBB20_21
; %bb.17:                               ;   in Loop: Header=BB20_4 Depth=1
	s_lshl_b64 s[90:91], s[70:71], 4
	s_add_u32 s90, s76, s90
	v_lshl_add_u64 v[32:33], v[10:11], 0, s[78:79]
	s_addc_u32 s91, s77, s91
	s_mov_b64 s[92:93], 0
	v_mov_b32_e32 v34, v4
	s_branch .LBB20_19
.LBB20_18:                              ;   in Loop: Header=BB20_19 Depth=2
	v_add_u32_e32 v34, s60, v34
	v_cmp_le_i32_e32 vcc, s7, v34
	s_or_b64 s[92:93], vcc, s[92:93]
	v_lshl_add_u64 v[32:33], v[32:33], 0, s[64:65]
	s_waitcnt vmcnt(0)
	global_store_dwordx4 v[36:37], v[0:3], off
	s_andn2_b64 exec, exec, s[92:93]
	s_cbranch_execz .LBB20_21
.LBB20_19:                              ;   Parent Loop BB20_4 Depth=1
                                        ; =>  This Loop Header: Depth=2
                                        ;       Child Loop BB20_20 Depth 3
	v_ashrrev_i32_e32 v35, 31, v34
	v_lshl_add_u64 v[36:37], v[34:35], 4, s[90:91]
	global_load_dwordx4 v[0:3], v[36:37], off
	s_andn2_b64 vcc, exec, s[52:53]
	v_mov_b64_e32 v[38:39], v[32:33]
	s_mov_b64 s[94:95], s[86:87]
	s_mov_b64 s[96:97], s[84:85]
	s_mov_b32 s43, s2
	s_cbranch_vccnz .LBB20_18
.LBB20_20:                              ;   Parent Loop BB20_4 Depth=1
                                        ;     Parent Loop BB20_19 Depth=2
                                        ; =>    This Inner Loop Header: Depth=3
	global_load_dwordx4 v[40:43], v[38:39], off offset:-8
	global_load_dwordx2 v[48:49], v5, s[96:97]
	global_load_dwordx2 v[50:51], v5, s[94:95]
	s_add_i32 s43, s43, -1
	s_add_u32 s96, s96, -8
	s_addc_u32 s97, s97, -1
	s_add_u32 s94, s94, -8
	s_addc_u32 s95, s95, -1
	s_cmp_eq_u32 s43, 0
	s_waitcnt vmcnt(1)
	v_mul_f64 v[44:45], v[48:49], v[40:41]
	v_mul_f64 v[46:47], v[48:49], v[42:43]
	s_waitcnt vmcnt(0)
	v_mul_f64 v[40:41], v[50:51], v[40:41]
	v_mul_f64 v[42:43], v[50:51], v[42:43]
	v_fmac_f64_e32 v[44:45], v[0:1], v[50:51]
	v_fmac_f64_e32 v[46:47], v[2:3], v[50:51]
	v_fma_f64 v[0:1], v[0:1], v[48:49], -v[40:41]
	v_fma_f64 v[2:3], v[2:3], v[48:49], -v[42:43]
	global_store_dwordx4 v[38:39], v[44:47], off offset:-8
	v_lshl_add_u64 v[38:39], v[38:39], 0, s[68:69]
	s_cbranch_scc0 .LBB20_20
	s_branch .LBB20_18
.LBB20_21:                              ;   in Loop: Header=BB20_4 Depth=1
	s_or_b64 exec, exec, s[88:89]
	s_mov_b64 s[88:89], 0
.LBB20_22:                              ;   in Loop: Header=BB20_4 Depth=1
	s_andn2_b64 vcc, exec, s[88:89]
	s_cbranch_vccnz .LBB20_29
; %bb.23:                               ;   in Loop: Header=BB20_4 Depth=1
	s_and_saveexec_b64 s[88:89], s[4:5]
	s_cbranch_execz .LBB20_28
; %bb.24:                               ;   in Loop: Header=BB20_4 Depth=1
	s_lshl_b64 s[90:91], s[70:71], 4
	s_add_u32 s90, s76, s90
	s_addc_u32 s91, s77, s91
	s_mov_b64 s[92:93], 0
	v_mov_b64_e32 v[32:33], v[28:29]
	v_mov_b32_e32 v34, v4
	s_branch .LBB20_26
.LBB20_25:                              ;   in Loop: Header=BB20_26 Depth=2
	v_add_u32_e32 v34, s60, v34
	v_cmp_le_i32_e32 vcc, s7, v34
	s_or_b64 s[92:93], vcc, s[92:93]
	v_lshl_add_u64 v[32:33], v[32:33], 0, s[64:65]
	s_waitcnt vmcnt(0)
	global_store_dwordx4 v[36:37], v[0:3], off
	s_andn2_b64 exec, exec, s[92:93]
	s_cbranch_execz .LBB20_28
.LBB20_26:                              ;   Parent Loop BB20_4 Depth=1
                                        ; =>  This Loop Header: Depth=2
                                        ;       Child Loop BB20_27 Depth 3
	v_ashrrev_i32_e32 v35, 31, v34
	v_lshl_add_u64 v[36:37], v[34:35], 4, s[90:91]
	global_load_dwordx4 v[0:3], v[36:37], off
	s_andn2_b64 vcc, exec, s[52:53]
	v_mov_b64_e32 v[38:39], v[32:33]
	s_mov_b64 s[94:95], s[16:17]
	s_mov_b64 s[96:97], s[74:75]
	s_mov_b32 s43, s2
	s_cbranch_vccnz .LBB20_25
.LBB20_27:                              ;   Parent Loop BB20_4 Depth=1
                                        ;     Parent Loop BB20_26 Depth=2
                                        ; =>    This Inner Loop Header: Depth=3
	global_load_dwordx4 v[40:43], v[38:39], off offset:-8
	global_load_dwordx2 v[48:49], v5, s[96:97]
	global_load_dwordx2 v[50:51], v5, s[94:95]
	s_add_i32 s43, s43, -1
	s_add_u32 s96, s96, 8
	s_addc_u32 s97, s97, 0
	s_add_u32 s94, s94, 8
	s_addc_u32 s95, s95, 0
	s_cmp_eq_u32 s43, 0
	s_waitcnt vmcnt(1)
	v_mul_f64 v[44:45], v[48:49], v[40:41]
	v_mul_f64 v[46:47], v[48:49], v[42:43]
	s_waitcnt vmcnt(0)
	v_mul_f64 v[40:41], v[50:51], v[40:41]
	v_mul_f64 v[42:43], v[50:51], v[42:43]
	v_fmac_f64_e32 v[44:45], v[0:1], v[50:51]
	v_fmac_f64_e32 v[46:47], v[2:3], v[50:51]
	v_fma_f64 v[0:1], v[0:1], v[48:49], -v[40:41]
	v_fma_f64 v[2:3], v[2:3], v[48:49], -v[42:43]
	global_store_dwordx4 v[38:39], v[44:47], off offset:-8
	v_lshl_add_u64 v[38:39], v[38:39], 0, s[66:67]
	s_cbranch_scc0 .LBB20_27
	s_branch .LBB20_25
.LBB20_28:                              ;   in Loop: Header=BB20_4 Depth=1
	s_or_b64 exec, exec, s[88:89]
.LBB20_29:                              ;   in Loop: Header=BB20_4 Depth=1
	s_mov_b64 s[88:89], 0
.LBB20_30:                              ;   in Loop: Header=BB20_4 Depth=1
	s_andn2_b64 vcc, exec, s[88:89]
	s_cbranch_vccnz .LBB20_37
; %bb.31:                               ;   in Loop: Header=BB20_4 Depth=1
	s_and_saveexec_b64 s[88:89], s[4:5]
	s_cbranch_execz .LBB20_36
; %bb.32:                               ;   in Loop: Header=BB20_4 Depth=1
	s_mov_b64 s[90:91], 0
	v_mov_b64_e32 v[32:33], v[30:31]
	v_mov_b32_e32 v34, v4
	s_branch .LBB20_34
.LBB20_33:                              ;   in Loop: Header=BB20_34 Depth=2
	v_add_u32_e32 v34, s60, v34
	v_cmp_le_i32_e32 vcc, s7, v34
	s_or_b64 s[90:91], vcc, s[90:91]
	v_lshl_add_u64 v[32:33], v[32:33], 0, s[64:65]
	s_waitcnt vmcnt(0)
	global_store_dwordx4 v[36:37], v[0:3], off
	s_andn2_b64 exec, exec, s[90:91]
	s_cbranch_execz .LBB20_36
.LBB20_34:                              ;   Parent Loop BB20_4 Depth=1
                                        ; =>  This Loop Header: Depth=2
                                        ;       Child Loop BB20_35 Depth 3
	v_ashrrev_i32_e32 v35, 31, v34
	v_lshl_add_u64 v[36:37], v[34:35], 4, s[76:77]
	global_load_dwordx4 v[0:3], v[36:37], off
	s_andn2_b64 vcc, exec, s[52:53]
	v_mov_b64_e32 v[38:39], v[32:33]
	s_mov_b64 s[92:93], s[86:87]
	s_mov_b64 s[94:95], s[84:85]
	s_mov_b32 s43, s21
	s_cbranch_vccnz .LBB20_33
.LBB20_35:                              ;   Parent Loop BB20_4 Depth=1
                                        ;     Parent Loop BB20_34 Depth=2
                                        ; =>    This Inner Loop Header: Depth=3
	global_load_dwordx2 v[44:45], v5, s[92:93]
	global_load_dwordx4 v[40:43], v[38:39], off offset:-8
	global_load_dwordx2 v[46:47], v5, s[94:95]
	s_add_i32 s43, s43, -1
	s_add_u32 s94, s94, -8
	s_waitcnt vmcnt(3)
	v_mov_b64_e32 v[48:49], v[2:3]
	v_mov_b64_e32 v[50:51], v[0:1]
	s_addc_u32 s95, s95, -1
	s_add_u32 s92, s92, -8
	s_addc_u32 s93, s93, -1
	s_cmp_lt_u32 s43, 3
	s_waitcnt vmcnt(2)
	v_mul_f64 v[52:53], v[50:51], v[44:45]
	v_mul_f64 v[54:55], v[48:49], v[44:45]
	s_waitcnt vmcnt(1)
	v_mul_f64 v[0:1], v[44:45], v[40:41]
	v_mul_f64 v[2:3], v[44:45], v[42:43]
	s_waitcnt vmcnt(0)
	v_fma_f64 v[40:41], v[46:47], v[40:41], -v[52:53]
	v_fma_f64 v[42:43], v[46:47], v[42:43], -v[54:55]
	v_fmac_f64_e32 v[0:1], v[50:51], v[46:47]
	v_fmac_f64_e32 v[2:3], v[48:49], v[46:47]
	global_store_dwordx4 v[38:39], v[40:43], off offset:-8
	v_lshl_add_u64 v[38:39], v[38:39], 0, s[68:69]
	s_cbranch_scc0 .LBB20_35
	s_branch .LBB20_33
.LBB20_36:                              ;   in Loop: Header=BB20_4 Depth=1
	s_or_b64 exec, exec, s[88:89]
.LBB20_37:                              ;   in Loop: Header=BB20_4 Depth=1
	s_mov_b64 s[88:89], 0
.LBB20_38:                              ;   in Loop: Header=BB20_4 Depth=1
	s_andn2_b64 vcc, exec, s[88:89]
	s_cbranch_vccnz .LBB20_45
; %bb.39:                               ;   in Loop: Header=BB20_4 Depth=1
	s_and_saveexec_b64 s[88:89], s[4:5]
	s_cbranch_execz .LBB20_44
; %bb.40:                               ;   in Loop: Header=BB20_4 Depth=1
	v_lshl_add_u64 v[32:33], v[16:17], 0, s[78:79]
	s_mov_b64 s[90:91], 0
	v_mov_b32_e32 v34, v4
	s_branch .LBB20_42
.LBB20_41:                              ;   in Loop: Header=BB20_42 Depth=2
	v_add_u32_e32 v34, s60, v34
	v_cmp_le_i32_e32 vcc, s7, v34
	s_or_b64 s[90:91], vcc, s[90:91]
	v_lshl_add_u64 v[32:33], v[32:33], 0, s[64:65]
	s_waitcnt vmcnt(0)
	global_store_dwordx4 v[36:37], v[0:3], off
	s_andn2_b64 exec, exec, s[90:91]
	s_cbranch_execz .LBB20_44
.LBB20_42:                              ;   Parent Loop BB20_4 Depth=1
                                        ; =>  This Loop Header: Depth=2
                                        ;       Child Loop BB20_43 Depth 3
	v_ashrrev_i32_e32 v35, 31, v34
	v_lshl_add_u64 v[36:37], v[34:35], 4, s[76:77]
	global_load_dwordx4 v[0:3], v[36:37], off
	s_andn2_b64 vcc, exec, s[52:53]
	v_mov_b64_e32 v[38:39], v[32:33]
	s_mov_b32 s43, s2
	s_mov_b64 s[92:93], s[74:75]
	s_mov_b64 s[94:95], s[16:17]
	s_cbranch_vccnz .LBB20_41
.LBB20_43:                              ;   Parent Loop BB20_4 Depth=1
                                        ;     Parent Loop BB20_42 Depth=2
                                        ; =>    This Inner Loop Header: Depth=3
	global_load_dwordx2 v[44:45], v5, s[94:95]
	global_load_dwordx4 v[40:43], v[38:39], off offset:-8
	global_load_dwordx2 v[46:47], v5, s[92:93]
	s_add_u32 s94, s94, 8
	s_waitcnt vmcnt(3)
	v_mov_b64_e32 v[48:49], v[2:3]
	v_mov_b64_e32 v[50:51], v[0:1]
	s_addc_u32 s95, s95, 0
	s_add_u32 s92, s92, 8
	s_addc_u32 s93, s93, 0
	s_add_i32 s43, s43, -1
	s_cmp_eq_u32 s43, 0
	s_waitcnt vmcnt(2)
	v_mul_f64 v[52:53], v[50:51], v[44:45]
	v_mul_f64 v[54:55], v[48:49], v[44:45]
	s_waitcnt vmcnt(1)
	v_mul_f64 v[0:1], v[44:45], v[40:41]
	v_mul_f64 v[2:3], v[44:45], v[42:43]
	s_waitcnt vmcnt(0)
	v_fma_f64 v[40:41], v[46:47], v[40:41], -v[52:53]
	v_fma_f64 v[42:43], v[46:47], v[42:43], -v[54:55]
	v_fmac_f64_e32 v[0:1], v[50:51], v[46:47]
	v_fmac_f64_e32 v[2:3], v[48:49], v[46:47]
	global_store_dwordx4 v[38:39], v[40:43], off offset:-8
	v_lshl_add_u64 v[38:39], v[38:39], 0, s[66:67]
	s_cbranch_scc0 .LBB20_43
	s_branch .LBB20_41
.LBB20_44:                              ;   in Loop: Header=BB20_4 Depth=1
	s_or_b64 exec, exec, s[88:89]
.LBB20_45:                              ;   in Loop: Header=BB20_4 Depth=1
	s_mov_b64 s[88:89], 0
.LBB20_46:                              ;   in Loop: Header=BB20_4 Depth=1
	s_andn2_b64 vcc, exec, s[88:89]
	s_cbranch_vccnz .LBB20_54
; %bb.47:                               ;   in Loop: Header=BB20_4 Depth=1
	s_and_saveexec_b64 s[88:89], s[4:5]
	s_cbranch_execz .LBB20_53
; %bb.48:                               ;   in Loop: Header=BB20_4 Depth=1
	s_lshl_b64 s[90:91], s[70:71], 4
	s_add_u32 s90, s76, s90
	v_lshl_add_u64 v[32:33], v[6:7], 0, s[78:79]
	s_addc_u32 s91, s77, s91
	s_mov_b64 s[92:93], 0
	v_mov_b32_e32 v34, v4
	s_branch .LBB20_50
.LBB20_49:                              ;   in Loop: Header=BB20_50 Depth=2
	v_lshl_add_u64 v[36:37], v[34:35], 4, s[76:77]
	v_add_u32_e32 v34, s60, v34
	v_cmp_le_i32_e32 vcc, s7, v34
	v_lshl_add_u64 v[32:33], v[32:33], 0, s[64:65]
	s_or_b64 s[92:93], vcc, s[92:93]
	v_lshl_add_u64 v[30:31], v[30:31], 0, s[64:65]
	s_waitcnt vmcnt(0)
	global_store_dwordx4 v[36:37], v[0:3], off
	s_andn2_b64 exec, exec, s[92:93]
	s_cbranch_execz .LBB20_53
.LBB20_50:                              ;   Parent Loop BB20_4 Depth=1
                                        ; =>  This Loop Header: Depth=2
                                        ;       Child Loop BB20_52 Depth 3
	v_ashrrev_i32_e32 v35, 31, v34
	v_lshl_add_u64 v[0:1], v[34:35], 4, s[90:91]
	global_load_dwordx4 v[0:3], v[0:1], off
	s_andn2_b64 vcc, exec, s[52:53]
	s_cbranch_vccnz .LBB20_49
; %bb.51:                               ;   in Loop: Header=BB20_50 Depth=2
	s_mov_b64 s[94:95], 0
	s_mov_b64 s[96:97], s[86:87]
	;; [unrolled: 1-line block ×3, first 2 shown]
	s_mov_b32 s43, s2
.LBB20_52:                              ;   Parent Loop BB20_4 Depth=1
                                        ;     Parent Loop BB20_50 Depth=2
                                        ; =>    This Inner Loop Header: Depth=3
	v_lshl_add_u64 v[36:37], v[32:33], 0, s[94:95]
	global_load_dwordx2 v[40:41], v5, s[96:97]
	s_nop 0
	global_load_dwordx4 v[36:39], v[36:37], off
	s_nop 0
	global_load_dwordx2 v[42:43], v5, s[98:99]
	s_add_i32 s43, s43, -1
	v_lshl_add_u64 v[48:49], v[30:31], 0, s[94:95]
	s_sub_u32 s94, s94, s66
	s_subb_u32 s95, s95, s67
	s_add_u32 s98, s98, -8
	s_addc_u32 s99, s99, -1
	s_add_u32 s96, s96, -8
	s_waitcnt vmcnt(3)
	v_mov_b64_e32 v[44:45], v[2:3]
	v_mov_b64_e32 v[46:47], v[0:1]
	s_addc_u32 s97, s97, -1
	s_cmp_eq_u32 s43, 0
	s_waitcnt vmcnt(1)
	v_mul_f64 v[50:51], v[40:41], v[36:37]
	v_mul_f64 v[52:53], v[40:41], v[38:39]
	s_waitcnt vmcnt(0)
	v_mul_f64 v[0:1], v[42:43], v[36:37]
	v_mul_f64 v[2:3], v[42:43], v[38:39]
	v_fma_f64 v[36:37], v[46:47], v[42:43], -v[50:51]
	v_fma_f64 v[38:39], v[44:45], v[42:43], -v[52:53]
	v_fmac_f64_e32 v[0:1], v[46:47], v[40:41]
	v_fmac_f64_e32 v[2:3], v[44:45], v[40:41]
	global_store_dwordx4 v[48:49], v[36:39], off offset:-8
	s_cbranch_scc0 .LBB20_52
	s_branch .LBB20_49
.LBB20_53:                              ;   in Loop: Header=BB20_4 Depth=1
	s_or_b64 exec, exec, s[88:89]
.LBB20_54:                              ;   in Loop: Header=BB20_4 Depth=1
	s_mov_b64 s[84:85], 0
.LBB20_55:                              ;   in Loop: Header=BB20_4 Depth=1
	s_andn2_b64 vcc, exec, s[84:85]
	s_cbranch_vccnz .LBB20_62
; %bb.56:                               ;   in Loop: Header=BB20_4 Depth=1
	s_and_saveexec_b64 s[84:85], s[4:5]
	s_cbranch_execz .LBB20_61
; %bb.57:                               ;   in Loop: Header=BB20_4 Depth=1
	s_lshl_b64 s[86:87], s[70:71], 4
	s_add_u32 s86, s76, s86
	s_addc_u32 s87, s77, s87
	s_mov_b64 s[88:89], 0
	v_mov_b32_e32 v30, v4
	s_branch .LBB20_59
.LBB20_58:                              ;   in Loop: Header=BB20_59 Depth=2
	v_lshl_add_u64 v[32:33], v[30:31], 4, s[86:87]
	v_add_u32_e32 v30, s60, v30
	v_cmp_le_i32_e32 vcc, s7, v30
	s_or_b64 s[88:89], vcc, s[88:89]
	v_lshl_add_u64 v[28:29], v[28:29], 0, s[64:65]
	s_waitcnt vmcnt(0)
	global_store_dwordx4 v[32:33], v[0:3], off
	s_andn2_b64 exec, exec, s[88:89]
	s_cbranch_execz .LBB20_61
.LBB20_59:                              ;   Parent Loop BB20_4 Depth=1
                                        ; =>  This Loop Header: Depth=2
                                        ;       Child Loop BB20_60 Depth 3
	v_ashrrev_i32_e32 v31, 31, v30
	v_lshl_add_u64 v[0:1], v[30:31], 4, s[76:77]
	global_load_dwordx4 v[0:3], v[0:1], off
	s_andn2_b64 vcc, exec, s[52:53]
	s_mov_b64 s[90:91], s[16:17]
	s_mov_b64 s[92:93], s[74:75]
	v_mov_b64_e32 v[32:33], v[28:29]
	s_mov_b32 s43, s2
	s_cbranch_vccnz .LBB20_58
.LBB20_60:                              ;   Parent Loop BB20_4 Depth=1
                                        ;     Parent Loop BB20_59 Depth=2
                                        ; =>    This Inner Loop Header: Depth=3
	global_load_dwordx2 v[40:41], v5, s[90:91]
	v_lshl_add_u64 v[42:43], v[32:33], 0, s[66:67]
	global_load_dwordx4 v[34:37], v[42:43], off offset:-8
	global_load_dwordx2 v[44:45], v5, s[92:93]
	s_add_i32 s43, s43, -1
	s_add_u32 s92, s92, 8
	s_addc_u32 s93, s93, 0
	s_add_u32 s90, s90, 8
	s_addc_u32 s91, s91, 0
	s_cmp_eq_u32 s43, 0
	s_waitcnt vmcnt(2)
	v_mul_f64 v[46:47], v[0:1], v[40:41]
	v_mul_f64 v[48:49], v[2:3], v[40:41]
	s_waitcnt vmcnt(1)
	v_mul_f64 v[38:39], v[40:41], v[34:35]
	v_mul_f64 v[40:41], v[40:41], v[36:37]
	s_waitcnt vmcnt(0)
	v_fmac_f64_e32 v[38:39], v[0:1], v[44:45]
	v_fmac_f64_e32 v[40:41], v[2:3], v[44:45]
	v_fma_f64 v[0:1], v[44:45], v[34:35], -v[46:47]
	v_fma_f64 v[2:3], v[44:45], v[36:37], -v[48:49]
	global_store_dwordx4 v[32:33], v[38:41], off offset:-8
	v_mov_b64_e32 v[32:33], v[42:43]
	s_cbranch_scc0 .LBB20_60
	s_branch .LBB20_58
.LBB20_61:                              ;   in Loop: Header=BB20_4 Depth=1
	s_or_b64 exec, exec, s[84:85]
.LBB20_62:                              ;   in Loop: Header=BB20_4 Depth=1
	s_mov_b64 s[84:85], 0
.LBB20_63:                              ;   in Loop: Header=BB20_4 Depth=1
	s_andn2_b64 vcc, exec, s[84:85]
	s_cbranch_vccnz .LBB20_70
; %bb.64:                               ;   in Loop: Header=BB20_4 Depth=1
	s_and_saveexec_b64 s[84:85], s[0:1]
	s_cbranch_execz .LBB20_69
; %bb.65:                               ;   in Loop: Header=BB20_4 Depth=1
	s_lshl_b64 s[86:87], s[54:55], 4
	s_add_u32 s86, s76, s86
	v_lshl_add_u64 v[28:29], v[18:19], 0, s[78:79]
	s_addc_u32 s87, s77, s87
	s_mov_b64 s[88:89], 0
	v_mov_b32_e32 v34, v4
	s_branch .LBB20_67
.LBB20_66:                              ;   in Loop: Header=BB20_67 Depth=2
	v_add_u32_e32 v34, s60, v34
	v_cmp_le_i32_e32 vcc, s48, v34
	s_or_b64 s[88:89], vcc, s[88:89]
	v_lshl_add_u64 v[28:29], v[28:29], 0, s[72:73]
	s_waitcnt vmcnt(0)
	global_store_dwordx4 v[30:31], v[0:3], off offset:-16
	s_andn2_b64 exec, exec, s[88:89]
	s_cbranch_execz .LBB20_69
.LBB20_67:                              ;   Parent Loop BB20_4 Depth=1
                                        ; =>  This Loop Header: Depth=2
                                        ;       Child Loop BB20_68 Depth 3
	v_mad_i64_i32 v[0:1], s[90:91], v34, s20, 0
	v_lshl_add_u64 v[30:31], v[0:1], 4, s[86:87]
	global_load_dwordx4 v[0:3], v[30:31], off offset:-16
	s_andn2_b64 vcc, exec, s[56:57]
	v_mov_b64_e32 v[32:33], v[28:29]
	s_mov_b64 s[90:91], s[82:83]
	s_mov_b64 s[92:93], s[80:81]
	s_mov_b32 s43, s50
	s_cbranch_vccnz .LBB20_66
.LBB20_68:                              ;   Parent Loop BB20_4 Depth=1
                                        ;     Parent Loop BB20_67 Depth=2
                                        ; =>    This Inner Loop Header: Depth=3
	global_load_dwordx4 v[36:39], v[32:33], off offset:-8
	global_load_dwordx2 v[44:45], v5, s[92:93]
	global_load_dwordx2 v[46:47], v5, s[90:91]
	s_add_i32 s43, s43, -1
	s_add_u32 s92, s92, -8
	s_addc_u32 s93, s93, -1
	s_add_u32 s90, s90, -8
	s_addc_u32 s91, s91, -1
	s_cmp_eq_u32 s43, 0
	s_waitcnt vmcnt(1)
	v_mul_f64 v[40:41], v[44:45], v[36:37]
	v_mul_f64 v[42:43], v[44:45], v[38:39]
	s_waitcnt vmcnt(0)
	v_mul_f64 v[36:37], v[46:47], v[36:37]
	v_mul_f64 v[38:39], v[46:47], v[38:39]
	v_fmac_f64_e32 v[40:41], v[0:1], v[46:47]
	v_fmac_f64_e32 v[42:43], v[2:3], v[46:47]
	v_fma_f64 v[0:1], v[0:1], v[44:45], -v[36:37]
	v_fma_f64 v[2:3], v[2:3], v[44:45], -v[38:39]
	global_store_dwordx4 v[32:33], v[40:43], off offset:-8
	v_lshl_add_u64 v[32:33], v[32:33], 0, -16
	s_cbranch_scc0 .LBB20_68
	s_branch .LBB20_66
.LBB20_69:                              ;   in Loop: Header=BB20_4 Depth=1
	s_or_b64 exec, exec, s[84:85]
.LBB20_70:                              ;   in Loop: Header=BB20_4 Depth=1
	s_mov_b64 s[84:85], 0
.LBB20_71:                              ;   in Loop: Header=BB20_4 Depth=1
	s_andn2_b64 vcc, exec, s[84:85]
	s_cbranch_vccnz .LBB20_78
; %bb.72:                               ;   in Loop: Header=BB20_4 Depth=1
	s_and_saveexec_b64 s[84:85], s[0:1]
	s_cbranch_execz .LBB20_77
; %bb.73:                               ;   in Loop: Header=BB20_4 Depth=1
	s_lshl_b64 s[86:87], s[54:55], 4
	s_add_u32 s86, s76, s86
	v_lshl_add_u64 v[28:29], v[20:21], 0, s[78:79]
	s_addc_u32 s87, s77, s87
	s_mov_b64 s[88:89], 0
	v_mov_b32_e32 v34, v4
	s_branch .LBB20_75
.LBB20_74:                              ;   in Loop: Header=BB20_75 Depth=2
	v_add_u32_e32 v34, s60, v34
	v_cmp_le_i32_e32 vcc, s48, v34
	s_or_b64 s[88:89], vcc, s[88:89]
	v_lshl_add_u64 v[28:29], v[28:29], 0, s[72:73]
	s_waitcnt vmcnt(0)
	global_store_dwordx4 v[30:31], v[0:3], off offset:-16
	s_andn2_b64 exec, exec, s[88:89]
	s_cbranch_execz .LBB20_77
.LBB20_75:                              ;   Parent Loop BB20_4 Depth=1
                                        ; =>  This Loop Header: Depth=2
                                        ;       Child Loop BB20_76 Depth 3
	v_mad_i64_i32 v[0:1], s[90:91], v34, s20, 0
	v_lshl_add_u64 v[30:31], v[0:1], 4, s[86:87]
	global_load_dwordx4 v[0:3], v[30:31], off offset:-16
	s_andn2_b64 vcc, exec, s[56:57]
	v_mov_b64_e32 v[32:33], v[28:29]
	s_mov_b64 s[90:91], s[16:17]
	s_mov_b64 s[92:93], s[74:75]
	s_mov_b32 s43, s50
	s_cbranch_vccnz .LBB20_74
.LBB20_76:                              ;   Parent Loop BB20_4 Depth=1
                                        ;     Parent Loop BB20_75 Depth=2
                                        ; =>    This Inner Loop Header: Depth=3
	global_load_dwordx4 v[36:39], v[32:33], off offset:-8
	global_load_dwordx2 v[44:45], v5, s[92:93]
	global_load_dwordx2 v[46:47], v5, s[90:91]
	s_add_i32 s43, s43, -1
	s_add_u32 s92, s92, 8
	s_addc_u32 s93, s93, 0
	s_add_u32 s90, s90, 8
	s_addc_u32 s91, s91, 0
	s_cmp_eq_u32 s43, 0
	s_waitcnt vmcnt(1)
	v_mul_f64 v[40:41], v[44:45], v[36:37]
	v_mul_f64 v[42:43], v[44:45], v[38:39]
	s_waitcnt vmcnt(0)
	v_mul_f64 v[36:37], v[46:47], v[36:37]
	v_mul_f64 v[38:39], v[46:47], v[38:39]
	v_fmac_f64_e32 v[40:41], v[0:1], v[46:47]
	v_fmac_f64_e32 v[42:43], v[2:3], v[46:47]
	v_fma_f64 v[0:1], v[0:1], v[44:45], -v[36:37]
	v_fma_f64 v[2:3], v[2:3], v[44:45], -v[38:39]
	global_store_dwordx4 v[32:33], v[40:43], off offset:-8
	v_lshl_add_u64 v[32:33], v[32:33], 0, 16
	s_cbranch_scc0 .LBB20_76
	s_branch .LBB20_74
.LBB20_77:                              ;   in Loop: Header=BB20_4 Depth=1
	s_or_b64 exec, exec, s[84:85]
.LBB20_78:                              ;   in Loop: Header=BB20_4 Depth=1
	s_mov_b64 s[84:85], 0
.LBB20_79:                              ;   in Loop: Header=BB20_4 Depth=1
	s_andn2_b64 vcc, exec, s[84:85]
	s_cbranch_vccnz .LBB20_86
; %bb.80:                               ;   in Loop: Header=BB20_4 Depth=1
	s_and_saveexec_b64 s[84:85], s[0:1]
	s_cbranch_execz .LBB20_85
; %bb.81:                               ;   in Loop: Header=BB20_4 Depth=1
	v_lshl_add_u64 v[28:29], v[22:23], 0, s[78:79]
	s_mov_b64 s[86:87], 0
	v_mov_b32_e32 v34, v4
	s_branch .LBB20_83
.LBB20_82:                              ;   in Loop: Header=BB20_83 Depth=2
	v_add_u32_e32 v34, s60, v34
	v_cmp_le_i32_e32 vcc, s48, v34
	s_or_b64 s[86:87], vcc, s[86:87]
	v_lshl_add_u64 v[28:29], v[28:29], 0, s[72:73]
	s_waitcnt vmcnt(0)
	global_store_dwordx4 v[30:31], v[0:3], off
	s_andn2_b64 exec, exec, s[86:87]
	s_cbranch_execz .LBB20_85
.LBB20_83:                              ;   Parent Loop BB20_4 Depth=1
                                        ; =>  This Loop Header: Depth=2
                                        ;       Child Loop BB20_84 Depth 3
	v_mad_i64_i32 v[0:1], s[88:89], v34, s20, 0
	v_lshl_add_u64 v[30:31], v[0:1], 4, s[76:77]
	global_load_dwordx4 v[0:3], v[30:31], off
	s_andn2_b64 vcc, exec, s[56:57]
	v_mov_b64_e32 v[32:33], v[28:29]
	s_mov_b64 s[88:89], s[82:83]
	s_mov_b64 s[90:91], s[80:81]
	s_mov_b32 s43, s42
	s_cbranch_vccnz .LBB20_82
.LBB20_84:                              ;   Parent Loop BB20_4 Depth=1
                                        ;     Parent Loop BB20_83 Depth=2
                                        ; =>    This Inner Loop Header: Depth=3
	global_load_dwordx2 v[40:41], v5, s[88:89]
	global_load_dwordx4 v[36:39], v[32:33], off offset:-8
	global_load_dwordx2 v[42:43], v5, s[90:91]
	s_add_i32 s43, s43, -1
	s_add_u32 s90, s90, -8
	s_waitcnt vmcnt(3)
	v_mov_b64_e32 v[44:45], v[2:3]
	v_mov_b64_e32 v[46:47], v[0:1]
	s_addc_u32 s91, s91, -1
	s_add_u32 s88, s88, -8
	s_addc_u32 s89, s89, -1
	s_cmp_lt_u32 s43, 3
	s_waitcnt vmcnt(2)
	v_mul_f64 v[48:49], v[46:47], v[40:41]
	v_mul_f64 v[50:51], v[44:45], v[40:41]
	s_waitcnt vmcnt(1)
	v_mul_f64 v[0:1], v[40:41], v[36:37]
	v_mul_f64 v[2:3], v[40:41], v[38:39]
	s_waitcnt vmcnt(0)
	v_fma_f64 v[36:37], v[42:43], v[36:37], -v[48:49]
	v_fma_f64 v[38:39], v[42:43], v[38:39], -v[50:51]
	v_fmac_f64_e32 v[0:1], v[46:47], v[42:43]
	v_fmac_f64_e32 v[2:3], v[44:45], v[42:43]
	global_store_dwordx4 v[32:33], v[36:39], off offset:-8
	v_lshl_add_u64 v[32:33], v[32:33], 0, -16
	s_cbranch_scc0 .LBB20_84
	s_branch .LBB20_82
.LBB20_85:                              ;   in Loop: Header=BB20_4 Depth=1
	s_or_b64 exec, exec, s[84:85]
.LBB20_86:                              ;   in Loop: Header=BB20_4 Depth=1
	s_mov_b64 s[84:85], 0
.LBB20_87:                              ;   in Loop: Header=BB20_4 Depth=1
	s_andn2_b64 vcc, exec, s[84:85]
	s_cbranch_vccnz .LBB20_94
; %bb.88:                               ;   in Loop: Header=BB20_4 Depth=1
	s_and_saveexec_b64 s[84:85], s[0:1]
	s_cbranch_execz .LBB20_93
; %bb.89:                               ;   in Loop: Header=BB20_4 Depth=1
	v_lshl_add_u64 v[28:29], v[24:25], 0, s[78:79]
	s_mov_b64 s[86:87], 0
	v_mov_b32_e32 v34, v4
	s_branch .LBB20_91
.LBB20_90:                              ;   in Loop: Header=BB20_91 Depth=2
	v_add_u32_e32 v34, s60, v34
	v_cmp_le_i32_e32 vcc, s48, v34
	s_or_b64 s[86:87], vcc, s[86:87]
	v_lshl_add_u64 v[28:29], v[28:29], 0, s[72:73]
	s_waitcnt vmcnt(0)
	global_store_dwordx4 v[30:31], v[0:3], off
	s_andn2_b64 exec, exec, s[86:87]
	s_cbranch_execz .LBB20_93
.LBB20_91:                              ;   Parent Loop BB20_4 Depth=1
                                        ; =>  This Loop Header: Depth=2
                                        ;       Child Loop BB20_92 Depth 3
	v_mad_i64_i32 v[0:1], s[88:89], v34, s20, 0
	v_lshl_add_u64 v[30:31], v[0:1], 4, s[76:77]
	global_load_dwordx4 v[0:3], v[30:31], off
	s_andn2_b64 vcc, exec, s[56:57]
	v_mov_b64_e32 v[32:33], v[28:29]
	s_mov_b32 s43, s50
	s_mov_b64 s[88:89], s[74:75]
	s_mov_b64 s[90:91], s[16:17]
	s_cbranch_vccnz .LBB20_90
.LBB20_92:                              ;   Parent Loop BB20_4 Depth=1
                                        ;     Parent Loop BB20_91 Depth=2
                                        ; =>    This Inner Loop Header: Depth=3
	global_load_dwordx2 v[40:41], v5, s[90:91]
	global_load_dwordx4 v[36:39], v[32:33], off
	global_load_dwordx2 v[42:43], v5, s[88:89]
	s_add_u32 s90, s90, 8
	s_waitcnt vmcnt(3)
	v_mov_b64_e32 v[44:45], v[2:3]
	v_mov_b64_e32 v[46:47], v[0:1]
	s_addc_u32 s91, s91, 0
	s_add_u32 s88, s88, 8
	s_addc_u32 s89, s89, 0
	s_add_i32 s43, s43, -1
	s_cmp_eq_u32 s43, 0
	s_waitcnt vmcnt(2)
	v_mul_f64 v[48:49], v[46:47], v[40:41]
	v_mul_f64 v[50:51], v[44:45], v[40:41]
	s_waitcnt vmcnt(1)
	v_mul_f64 v[0:1], v[40:41], v[36:37]
	v_mul_f64 v[2:3], v[40:41], v[38:39]
	s_waitcnt vmcnt(0)
	v_fma_f64 v[36:37], v[42:43], v[36:37], -v[48:49]
	v_fma_f64 v[38:39], v[42:43], v[38:39], -v[50:51]
	v_fmac_f64_e32 v[0:1], v[46:47], v[42:43]
	v_fmac_f64_e32 v[2:3], v[44:45], v[42:43]
	global_store_dwordx4 v[32:33], v[36:39], off
	v_lshl_add_u64 v[32:33], v[32:33], 0, 16
	s_cbranch_scc0 .LBB20_92
	s_branch .LBB20_90
.LBB20_93:                              ;   in Loop: Header=BB20_4 Depth=1
	s_or_b64 exec, exec, s[84:85]
.LBB20_94:                              ;   in Loop: Header=BB20_4 Depth=1
	s_mov_b64 s[84:85], 0
.LBB20_95:                              ;   in Loop: Header=BB20_4 Depth=1
	s_andn2_b64 vcc, exec, s[84:85]
	s_cbranch_vccnz .LBB20_102
; %bb.96:                               ;   in Loop: Header=BB20_4 Depth=1
	s_and_saveexec_b64 s[84:85], s[0:1]
	s_cbranch_execz .LBB20_101
; %bb.97:                               ;   in Loop: Header=BB20_4 Depth=1
	s_lshl_b64 s[86:87], s[54:55], 4
	s_add_u32 s86, s76, s86
	v_lshl_add_u64 v[28:29], v[8:9], 0, s[78:79]
	s_addc_u32 s87, s77, s87
	s_mov_b64 s[88:89], 0
	v_mov_b32_e32 v34, v4
	s_branch .LBB20_99
.LBB20_98:                              ;   in Loop: Header=BB20_99 Depth=2
	v_add_u32_e32 v34, s60, v34
	v_cmp_le_i32_e32 vcc, s48, v34
	v_lshl_add_u64 v[30:31], v[30:31], 4, s[76:77]
	s_or_b64 s[88:89], vcc, s[88:89]
	v_lshl_add_u64 v[28:29], v[28:29], 0, s[72:73]
	s_waitcnt vmcnt(0)
	global_store_dwordx4 v[30:31], v[0:3], off
	s_andn2_b64 exec, exec, s[88:89]
	s_cbranch_execz .LBB20_101
.LBB20_99:                              ;   Parent Loop BB20_4 Depth=1
                                        ; =>  This Loop Header: Depth=2
                                        ;       Child Loop BB20_100 Depth 3
	v_mad_i64_i32 v[30:31], s[90:91], v34, s20, 0
	v_lshl_add_u64 v[0:1], v[30:31], 4, s[86:87]
	global_load_dwordx4 v[0:3], v[0:1], off offset:-16
	s_andn2_b64 vcc, exec, s[56:57]
	v_mov_b64_e32 v[32:33], v[28:29]
	s_mov_b64 s[90:91], s[82:83]
	s_mov_b64 s[92:93], s[80:81]
	s_mov_b32 s43, s50
	s_cbranch_vccnz .LBB20_98
.LBB20_100:                             ;   Parent Loop BB20_4 Depth=1
                                        ;     Parent Loop BB20_99 Depth=2
                                        ; =>    This Inner Loop Header: Depth=3
	global_load_dwordx4 v[36:39], v[32:33], off
	global_load_dwordx2 v[40:41], v5, s[90:91]
	global_load_dwordx2 v[42:43], v5, s[92:93]
	s_add_i32 s43, s43, -1
	s_add_u32 s92, s92, -8
	s_addc_u32 s93, s93, -1
	s_waitcnt vmcnt(3)
	v_mov_b64_e32 v[44:45], v[2:3]
	v_mov_b64_e32 v[46:47], v[0:1]
	s_add_u32 s90, s90, -8
	s_addc_u32 s91, s91, -1
	s_cmp_eq_u32 s43, 0
	s_waitcnt vmcnt(1)
	v_mul_f64 v[48:49], v[40:41], v[36:37]
	v_mul_f64 v[50:51], v[40:41], v[38:39]
	s_waitcnt vmcnt(0)
	v_mul_f64 v[0:1], v[42:43], v[36:37]
	v_mul_f64 v[2:3], v[42:43], v[38:39]
	v_fma_f64 v[36:37], v[46:47], v[42:43], -v[48:49]
	v_fma_f64 v[38:39], v[44:45], v[42:43], -v[50:51]
	v_fmac_f64_e32 v[0:1], v[46:47], v[40:41]
	v_fmac_f64_e32 v[2:3], v[44:45], v[40:41]
	global_store_dwordx4 v[32:33], v[36:39], off offset:16
	v_lshl_add_u64 v[32:33], v[32:33], 0, -16
	s_cbranch_scc0 .LBB20_100
	s_branch .LBB20_98
.LBB20_101:                             ;   in Loop: Header=BB20_4 Depth=1
	s_or_b64 exec, exec, s[84:85]
.LBB20_102:                             ;   in Loop: Header=BB20_4 Depth=1
	s_cbranch_execnz .LBB20_3
.LBB20_103:                             ;   in Loop: Header=BB20_4 Depth=1
	s_and_saveexec_b64 s[80:81], s[0:1]
	s_cbranch_execz .LBB20_2
; %bb.104:                              ;   in Loop: Header=BB20_4 Depth=1
	v_lshl_add_u64 v[28:29], v[26:27], 0, s[78:79]
	s_lshl_b64 s[78:79], s[54:55], 4
	s_add_u32 s78, s76, s78
	s_addc_u32 s79, s77, s79
	s_mov_b64 s[82:83], 0
	v_mov_b32_e32 v34, v4
	s_branch .LBB20_106
.LBB20_105:                             ;   in Loop: Header=BB20_106 Depth=2
	v_add_u32_e32 v34, s60, v34
	v_cmp_le_i32_e32 vcc, s48, v34
	v_lshl_add_u64 v[30:31], v[30:31], 4, s[78:79]
	s_or_b64 s[82:83], vcc, s[82:83]
	v_lshl_add_u64 v[28:29], v[28:29], 0, s[72:73]
	s_waitcnt vmcnt(0)
	global_store_dwordx4 v[30:31], v[0:3], off offset:-16
	s_andn2_b64 exec, exec, s[82:83]
	s_cbranch_execz .LBB20_2
.LBB20_106:                             ;   Parent Loop BB20_4 Depth=1
                                        ; =>  This Loop Header: Depth=2
                                        ;       Child Loop BB20_107 Depth 3
	v_mad_i64_i32 v[30:31], s[84:85], v34, s20, 0
	v_lshl_add_u64 v[0:1], v[30:31], 4, s[76:77]
	global_load_dwordx4 v[0:3], v[0:1], off
	s_andn2_b64 vcc, exec, s[56:57]
	v_mov_b64_e32 v[32:33], v[28:29]
	s_mov_b64 s[84:85], s[74:75]
	s_mov_b64 s[86:87], s[16:17]
	s_mov_b32 s43, s50
	s_cbranch_vccnz .LBB20_105
.LBB20_107:                             ;   Parent Loop BB20_4 Depth=1
                                        ;     Parent Loop BB20_106 Depth=2
                                        ; =>    This Inner Loop Header: Depth=3
	global_load_dwordx4 v[36:39], v[32:33], off offset:-8
	global_load_dwordx2 v[44:45], v5, s[86:87]
	global_load_dwordx2 v[46:47], v5, s[84:85]
	s_add_i32 s43, s43, -1
	s_add_u32 s86, s86, 8
	s_addc_u32 s87, s87, 0
	s_add_u32 s84, s84, 8
	s_addc_u32 s85, s85, 0
	s_cmp_eq_u32 s43, 0
	s_waitcnt vmcnt(1)
	v_mul_f64 v[40:41], v[44:45], v[36:37]
	v_mul_f64 v[42:43], v[44:45], v[38:39]
	;; [unrolled: 1-line block ×4, first 2 shown]
	s_waitcnt vmcnt(0)
	v_fmac_f64_e32 v[40:41], v[0:1], v[46:47]
	v_fmac_f64_e32 v[42:43], v[2:3], v[46:47]
	v_fma_f64 v[0:1], v[46:47], v[36:37], -v[48:49]
	v_fma_f64 v[2:3], v[46:47], v[38:39], -v[44:45]
	global_store_dwordx4 v[32:33], v[40:43], off offset:-24
	v_lshl_add_u64 v[32:33], v[32:33], 0, 16
	s_cbranch_scc0 .LBB20_107
	s_branch .LBB20_105
.LBB20_108:
	s_endpgm
	.section	.rodata,"a",@progbits
	.p2align	6, 0x0
	.amdhsa_kernel _ZN9rocsolver6v33100L11lasr_kernelI19rocblas_complex_numIdEdPS3_iEEv13rocblas_side_14rocblas_pivot_15rocblas_direct_T2_S8_PT0_lSA_lT1_lS8_lS8_
		.amdhsa_group_segment_fixed_size 0
		.amdhsa_private_segment_fixed_size 0
		.amdhsa_kernarg_size 352
		.amdhsa_user_sgpr_count 2
		.amdhsa_user_sgpr_dispatch_ptr 0
		.amdhsa_user_sgpr_queue_ptr 0
		.amdhsa_user_sgpr_kernarg_segment_ptr 1
		.amdhsa_user_sgpr_dispatch_id 0
		.amdhsa_user_sgpr_kernarg_preload_length 0
		.amdhsa_user_sgpr_kernarg_preload_offset 0
		.amdhsa_user_sgpr_private_segment_size 0
		.amdhsa_uses_dynamic_stack 0
		.amdhsa_enable_private_segment 0
		.amdhsa_system_sgpr_workgroup_id_x 1
		.amdhsa_system_sgpr_workgroup_id_y 0
		.amdhsa_system_sgpr_workgroup_id_z 1
		.amdhsa_system_sgpr_workgroup_info 0
		.amdhsa_system_vgpr_workitem_id 0
		.amdhsa_next_free_vgpr 57
		.amdhsa_next_free_sgpr 100
		.amdhsa_accum_offset 60
		.amdhsa_reserve_vcc 1
		.amdhsa_float_round_mode_32 0
		.amdhsa_float_round_mode_16_64 0
		.amdhsa_float_denorm_mode_32 3
		.amdhsa_float_denorm_mode_16_64 3
		.amdhsa_dx10_clamp 1
		.amdhsa_ieee_mode 1
		.amdhsa_fp16_overflow 0
		.amdhsa_tg_split 0
		.amdhsa_exception_fp_ieee_invalid_op 0
		.amdhsa_exception_fp_denorm_src 0
		.amdhsa_exception_fp_ieee_div_zero 0
		.amdhsa_exception_fp_ieee_overflow 0
		.amdhsa_exception_fp_ieee_underflow 0
		.amdhsa_exception_fp_ieee_inexact 0
		.amdhsa_exception_int_div_zero 0
	.end_amdhsa_kernel
	.section	.text._ZN9rocsolver6v33100L11lasr_kernelI19rocblas_complex_numIdEdPS3_iEEv13rocblas_side_14rocblas_pivot_15rocblas_direct_T2_S8_PT0_lSA_lT1_lS8_lS8_,"axG",@progbits,_ZN9rocsolver6v33100L11lasr_kernelI19rocblas_complex_numIdEdPS3_iEEv13rocblas_side_14rocblas_pivot_15rocblas_direct_T2_S8_PT0_lSA_lT1_lS8_lS8_,comdat
.Lfunc_end20:
	.size	_ZN9rocsolver6v33100L11lasr_kernelI19rocblas_complex_numIdEdPS3_iEEv13rocblas_side_14rocblas_pivot_15rocblas_direct_T2_S8_PT0_lSA_lT1_lS8_lS8_, .Lfunc_end20-_ZN9rocsolver6v33100L11lasr_kernelI19rocblas_complex_numIdEdPS3_iEEv13rocblas_side_14rocblas_pivot_15rocblas_direct_T2_S8_PT0_lSA_lT1_lS8_lS8_
                                        ; -- End function
	.set _ZN9rocsolver6v33100L11lasr_kernelI19rocblas_complex_numIdEdPS3_iEEv13rocblas_side_14rocblas_pivot_15rocblas_direct_T2_S8_PT0_lSA_lT1_lS8_lS8_.num_vgpr, 57
	.set _ZN9rocsolver6v33100L11lasr_kernelI19rocblas_complex_numIdEdPS3_iEEv13rocblas_side_14rocblas_pivot_15rocblas_direct_T2_S8_PT0_lSA_lT1_lS8_lS8_.num_agpr, 0
	.set _ZN9rocsolver6v33100L11lasr_kernelI19rocblas_complex_numIdEdPS3_iEEv13rocblas_side_14rocblas_pivot_15rocblas_direct_T2_S8_PT0_lSA_lT1_lS8_lS8_.numbered_sgpr, 100
	.set _ZN9rocsolver6v33100L11lasr_kernelI19rocblas_complex_numIdEdPS3_iEEv13rocblas_side_14rocblas_pivot_15rocblas_direct_T2_S8_PT0_lSA_lT1_lS8_lS8_.num_named_barrier, 0
	.set _ZN9rocsolver6v33100L11lasr_kernelI19rocblas_complex_numIdEdPS3_iEEv13rocblas_side_14rocblas_pivot_15rocblas_direct_T2_S8_PT0_lSA_lT1_lS8_lS8_.private_seg_size, 0
	.set _ZN9rocsolver6v33100L11lasr_kernelI19rocblas_complex_numIdEdPS3_iEEv13rocblas_side_14rocblas_pivot_15rocblas_direct_T2_S8_PT0_lSA_lT1_lS8_lS8_.uses_vcc, 1
	.set _ZN9rocsolver6v33100L11lasr_kernelI19rocblas_complex_numIdEdPS3_iEEv13rocblas_side_14rocblas_pivot_15rocblas_direct_T2_S8_PT0_lSA_lT1_lS8_lS8_.uses_flat_scratch, 0
	.set _ZN9rocsolver6v33100L11lasr_kernelI19rocblas_complex_numIdEdPS3_iEEv13rocblas_side_14rocblas_pivot_15rocblas_direct_T2_S8_PT0_lSA_lT1_lS8_lS8_.has_dyn_sized_stack, 0
	.set _ZN9rocsolver6v33100L11lasr_kernelI19rocblas_complex_numIdEdPS3_iEEv13rocblas_side_14rocblas_pivot_15rocblas_direct_T2_S8_PT0_lSA_lT1_lS8_lS8_.has_recursion, 0
	.set _ZN9rocsolver6v33100L11lasr_kernelI19rocblas_complex_numIdEdPS3_iEEv13rocblas_side_14rocblas_pivot_15rocblas_direct_T2_S8_PT0_lSA_lT1_lS8_lS8_.has_indirect_call, 0
	.section	.AMDGPU.csdata,"",@progbits
; Kernel info:
; codeLenInByte = 4560
; TotalNumSgprs: 106
; NumVgprs: 57
; NumAgprs: 0
; TotalNumVgprs: 57
; ScratchSize: 0
; MemoryBound: 0
; FloatMode: 240
; IeeeMode: 1
; LDSByteSize: 0 bytes/workgroup (compile time only)
; SGPRBlocks: 13
; VGPRBlocks: 7
; NumSGPRsForWavesPerEU: 106
; NumVGPRsForWavesPerEU: 57
; AccumOffset: 60
; Occupancy: 7
; WaveLimiterHint : 0
; COMPUTE_PGM_RSRC2:SCRATCH_EN: 0
; COMPUTE_PGM_RSRC2:USER_SGPR: 2
; COMPUTE_PGM_RSRC2:TRAP_HANDLER: 0
; COMPUTE_PGM_RSRC2:TGID_X_EN: 1
; COMPUTE_PGM_RSRC2:TGID_Y_EN: 0
; COMPUTE_PGM_RSRC2:TGID_Z_EN: 1
; COMPUTE_PGM_RSRC2:TIDIG_COMP_CNT: 0
; COMPUTE_PGM_RSRC3_GFX90A:ACCUM_OFFSET: 14
; COMPUTE_PGM_RSRC3_GFX90A:TG_SPLIT: 0
	.section	.text._ZN9rocsolver6v33100L11swap_kernelI19rocblas_complex_numIdEiEEvT0_PT_S4_S6_S4_,"axG",@progbits,_ZN9rocsolver6v33100L11swap_kernelI19rocblas_complex_numIdEiEEvT0_PT_S4_S6_S4_,comdat
	.globl	_ZN9rocsolver6v33100L11swap_kernelI19rocblas_complex_numIdEiEEvT0_PT_S4_S6_S4_ ; -- Begin function _ZN9rocsolver6v33100L11swap_kernelI19rocblas_complex_numIdEiEEvT0_PT_S4_S6_S4_
	.p2align	8
	.type	_ZN9rocsolver6v33100L11swap_kernelI19rocblas_complex_numIdEiEEvT0_PT_S4_S6_S4_,@function
_ZN9rocsolver6v33100L11swap_kernelI19rocblas_complex_numIdEiEEvT0_PT_S4_S6_S4_: ; @_ZN9rocsolver6v33100L11swap_kernelI19rocblas_complex_numIdEiEEvT0_PT_S4_S6_S4_
; %bb.0:
	s_load_dword s16, s[2:3], 0x0
	s_waitcnt lgkmcnt(0)
	s_cmp_lt_i32 s16, 1
	s_cbranch_scc1 .LBB21_10
; %bb.1:
	s_load_dwordx2 s[14:15], s[0:1], 0x4
	s_load_dwordx2 s[6:7], s[2:3], 0x8
	s_load_dword s12, s[2:3], 0x10
	s_load_dwordx2 s[8:9], s[2:3], 0x18
	s_load_dword s10, s[2:3], 0x20
	s_waitcnt lgkmcnt(0)
	s_lshr_b32 s0, s14, 16
	s_mul_i32 s0, s0, s15
	v_and_b32_e32 v2, 0x3ff, v0
	v_mul_lo_u32 v1, s0, v2
	s_load_dword s0, s[2:3], 0x28
	s_load_dword s1, s[2:3], 0x34
	v_bfe_u32 v3, v0, 10, 10
	v_mul_u32_u24_e32 v3, s15, v3
	v_bfe_u32 v0, v0, 20, 10
	v_add3_u32 v1, v1, v3, v0
	s_waitcnt lgkmcnt(0)
	s_and_b32 s1, s1, 0xffff
	s_cmp_eq_u32 s12, 1
	s_mul_i32 s4, s4, s1
	s_mul_i32 s2, s0, s1
	s_cselect_b64 s[0:1], -1, 0
	s_cmp_eq_u32 s10, 1
	v_add_u32_e32 v0, s4, v2
	s_cselect_b64 s[4:5], -1, 0
	s_and_b64 s[14:15], s[0:1], s[4:5]
	v_cmp_gt_i32_e64 s[0:1], s16, v0
	s_mov_b64 s[4:5], -1
	s_and_b64 vcc, exec, s[14:15]
	s_cbranch_vccnz .LBB21_6
; %bb.2:
	s_and_saveexec_b64 s[4:5], s[0:1]
	s_cbranch_execz .LBB21_5
; %bb.3:
	v_mad_i64_i32 v[2:3], s[14:15], s10, v0, 0
	s_mul_hi_i32 s11, s10, s2
	s_mul_i32 s10, s10, s2
	v_mad_i64_i32 v[4:5], s[14:15], s12, v0, 0
	s_mul_hi_i32 s13, s12, s2
	s_mul_i32 s12, s12, s2
	v_lshlrev_b32_e32 v6, 4, v1
	v_lshl_add_u64 v[2:3], v[2:3], 4, s[8:9]
	s_lshl_b64 s[10:11], s[10:11], 4
	v_lshl_add_u64 v[4:5], v[4:5], 4, s[6:7]
	s_lshl_b64 s[12:13], s[12:13], 4
	s_mov_b64 s[14:15], 0
	v_mov_b32_e32 v7, v0
.LBB21_4:                               ; =>This Inner Loop Header: Depth=1
	global_load_dwordx4 v[8:11], v[2:3], off
	global_load_dwordx4 v[12:15], v[4:5], off
	v_add_u32_e32 v7, s2, v7
	v_cmp_le_i32_e32 vcc, s16, v7
	s_or_b64 s[14:15], vcc, s[14:15]
	s_waitcnt vmcnt(1)
	ds_write2_b64 v6, v[8:9], v[10:11] offset1:1
	s_waitcnt vmcnt(0)
	global_store_dwordx4 v[2:3], v[12:15], off
	global_store_dwordx4 v[4:5], v[8:11], off
	v_lshl_add_u64 v[2:3], v[2:3], 0, s[10:11]
	v_lshl_add_u64 v[4:5], v[4:5], 0, s[12:13]
	s_andn2_b64 exec, exec, s[14:15]
	s_cbranch_execnz .LBB21_4
.LBB21_5:
	s_or_b64 exec, exec, s[4:5]
	s_mov_b64 s[4:5], 0
.LBB21_6:
	s_andn2_b64 vcc, exec, s[4:5]
	s_cbranch_vccnz .LBB21_10
; %bb.7:
	s_and_saveexec_b64 s[4:5], s[0:1]
	s_cbranch_execz .LBB21_10
; %bb.8:
	v_mov_b32_e32 v2, 0x4000
	v_lshl_add_u32 v4, v1, 4, v2
	v_ashrrev_i32_e32 v1, 31, v0
	s_ashr_i32 s3, s2, 31
	v_lshlrev_b64 v[2:3], 4, v[0:1]
	s_lshl_b64 s[0:1], s[2:3], 4
	s_mov_b64 s[4:5], 0
.LBB21_9:                               ; =>This Inner Loop Header: Depth=1
	v_lshl_add_u64 v[14:15], s[8:9], 0, v[2:3]
	v_lshl_add_u64 v[16:17], s[6:7], 0, v[2:3]
	global_load_dwordx4 v[6:9], v[14:15], off
	global_load_dwordx4 v[10:13], v[16:17], off
	v_add_u32_e32 v0, s2, v0
	v_cmp_le_i32_e32 vcc, s16, v0
	v_lshl_add_u64 v[2:3], v[2:3], 0, s[0:1]
	s_or_b64 s[4:5], vcc, s[4:5]
	s_waitcnt vmcnt(1)
	ds_write2_b64 v4, v[6:7], v[8:9] offset1:1
	s_waitcnt vmcnt(0)
	global_store_dwordx4 v[14:15], v[10:13], off
	global_store_dwordx4 v[16:17], v[6:9], off
	s_andn2_b64 exec, exec, s[4:5]
	s_cbranch_execnz .LBB21_9
.LBB21_10:
	s_endpgm
	.section	.rodata,"a",@progbits
	.p2align	6, 0x0
	.amdhsa_kernel _ZN9rocsolver6v33100L11swap_kernelI19rocblas_complex_numIdEiEEvT0_PT_S4_S6_S4_
		.amdhsa_group_segment_fixed_size 32768
		.amdhsa_private_segment_fixed_size 0
		.amdhsa_kernarg_size 296
		.amdhsa_user_sgpr_count 4
		.amdhsa_user_sgpr_dispatch_ptr 1
		.amdhsa_user_sgpr_queue_ptr 0
		.amdhsa_user_sgpr_kernarg_segment_ptr 1
		.amdhsa_user_sgpr_dispatch_id 0
		.amdhsa_user_sgpr_kernarg_preload_length 0
		.amdhsa_user_sgpr_kernarg_preload_offset 0
		.amdhsa_user_sgpr_private_segment_size 0
		.amdhsa_uses_dynamic_stack 0
		.amdhsa_enable_private_segment 0
		.amdhsa_system_sgpr_workgroup_id_x 1
		.amdhsa_system_sgpr_workgroup_id_y 0
		.amdhsa_system_sgpr_workgroup_id_z 0
		.amdhsa_system_sgpr_workgroup_info 0
		.amdhsa_system_vgpr_workitem_id 2
		.amdhsa_next_free_vgpr 18
		.amdhsa_next_free_sgpr 17
		.amdhsa_accum_offset 20
		.amdhsa_reserve_vcc 1
		.amdhsa_float_round_mode_32 0
		.amdhsa_float_round_mode_16_64 0
		.amdhsa_float_denorm_mode_32 3
		.amdhsa_float_denorm_mode_16_64 3
		.amdhsa_dx10_clamp 1
		.amdhsa_ieee_mode 1
		.amdhsa_fp16_overflow 0
		.amdhsa_tg_split 0
		.amdhsa_exception_fp_ieee_invalid_op 0
		.amdhsa_exception_fp_denorm_src 0
		.amdhsa_exception_fp_ieee_div_zero 0
		.amdhsa_exception_fp_ieee_overflow 0
		.amdhsa_exception_fp_ieee_underflow 0
		.amdhsa_exception_fp_ieee_inexact 0
		.amdhsa_exception_int_div_zero 0
	.end_amdhsa_kernel
	.section	.text._ZN9rocsolver6v33100L11swap_kernelI19rocblas_complex_numIdEiEEvT0_PT_S4_S6_S4_,"axG",@progbits,_ZN9rocsolver6v33100L11swap_kernelI19rocblas_complex_numIdEiEEvT0_PT_S4_S6_S4_,comdat
.Lfunc_end21:
	.size	_ZN9rocsolver6v33100L11swap_kernelI19rocblas_complex_numIdEiEEvT0_PT_S4_S6_S4_, .Lfunc_end21-_ZN9rocsolver6v33100L11swap_kernelI19rocblas_complex_numIdEiEEvT0_PT_S4_S6_S4_
                                        ; -- End function
	.set _ZN9rocsolver6v33100L11swap_kernelI19rocblas_complex_numIdEiEEvT0_PT_S4_S6_S4_.num_vgpr, 18
	.set _ZN9rocsolver6v33100L11swap_kernelI19rocblas_complex_numIdEiEEvT0_PT_S4_S6_S4_.num_agpr, 0
	.set _ZN9rocsolver6v33100L11swap_kernelI19rocblas_complex_numIdEiEEvT0_PT_S4_S6_S4_.numbered_sgpr, 17
	.set _ZN9rocsolver6v33100L11swap_kernelI19rocblas_complex_numIdEiEEvT0_PT_S4_S6_S4_.num_named_barrier, 0
	.set _ZN9rocsolver6v33100L11swap_kernelI19rocblas_complex_numIdEiEEvT0_PT_S4_S6_S4_.private_seg_size, 0
	.set _ZN9rocsolver6v33100L11swap_kernelI19rocblas_complex_numIdEiEEvT0_PT_S4_S6_S4_.uses_vcc, 1
	.set _ZN9rocsolver6v33100L11swap_kernelI19rocblas_complex_numIdEiEEvT0_PT_S4_S6_S4_.uses_flat_scratch, 0
	.set _ZN9rocsolver6v33100L11swap_kernelI19rocblas_complex_numIdEiEEvT0_PT_S4_S6_S4_.has_dyn_sized_stack, 0
	.set _ZN9rocsolver6v33100L11swap_kernelI19rocblas_complex_numIdEiEEvT0_PT_S4_S6_S4_.has_recursion, 0
	.set _ZN9rocsolver6v33100L11swap_kernelI19rocblas_complex_numIdEiEEvT0_PT_S4_S6_S4_.has_indirect_call, 0
	.section	.AMDGPU.csdata,"",@progbits
; Kernel info:
; codeLenInByte = 516
; TotalNumSgprs: 23
; NumVgprs: 18
; NumAgprs: 0
; TotalNumVgprs: 18
; ScratchSize: 0
; MemoryBound: 0
; FloatMode: 240
; IeeeMode: 1
; LDSByteSize: 32768 bytes/workgroup (compile time only)
; SGPRBlocks: 2
; VGPRBlocks: 2
; NumSGPRsForWavesPerEU: 23
; NumVGPRsForWavesPerEU: 18
; AccumOffset: 20
; Occupancy: 8
; WaveLimiterHint : 0
; COMPUTE_PGM_RSRC2:SCRATCH_EN: 0
; COMPUTE_PGM_RSRC2:USER_SGPR: 4
; COMPUTE_PGM_RSRC2:TRAP_HANDLER: 0
; COMPUTE_PGM_RSRC2:TGID_X_EN: 1
; COMPUTE_PGM_RSRC2:TGID_Y_EN: 0
; COMPUTE_PGM_RSRC2:TGID_Z_EN: 0
; COMPUTE_PGM_RSRC2:TIDIG_COMP_CNT: 2
; COMPUTE_PGM_RSRC3_GFX90A:ACCUM_OFFSET: 4
; COMPUTE_PGM_RSRC3_GFX90A:TG_SPLIT: 0
	.section	.text._ZN9rocsolver6v33100L12steqr_kernelI19rocblas_complex_numIdEdPS3_EEviPT0_lS6_lT1_iilPiS6_iS5_S5_S5_,"axG",@progbits,_ZN9rocsolver6v33100L12steqr_kernelI19rocblas_complex_numIdEdPS3_EEviPT0_lS6_lT1_iilPiS6_iS5_S5_S5_,comdat
	.globl	_ZN9rocsolver6v33100L12steqr_kernelI19rocblas_complex_numIdEdPS3_EEviPT0_lS6_lT1_iilPiS6_iS5_S5_S5_ ; -- Begin function _ZN9rocsolver6v33100L12steqr_kernelI19rocblas_complex_numIdEdPS3_EEviPT0_lS6_lT1_iilPiS6_iS5_S5_S5_
	.p2align	8
	.type	_ZN9rocsolver6v33100L12steqr_kernelI19rocblas_complex_numIdEdPS3_EEviPT0_lS6_lT1_iilPiS6_iS5_S5_S5_,@function
_ZN9rocsolver6v33100L12steqr_kernelI19rocblas_complex_numIdEdPS3_EEviPT0_lS6_lT1_iilPiS6_iS5_S5_S5_: ; @_ZN9rocsolver6v33100L12steqr_kernelI19rocblas_complex_numIdEdPS3_EEviPT0_lS6_lT1_iilPiS6_iS5_S5_S5_
; %bb.0:
                                        ; implicit-def: $vgpr65 : SGPR spill to VGPR lane
	s_mov_b32 s40, s5
	v_writelane_b32 v65, s0, 0
	v_and_b32_e32 v1, 0x3ff, v0
	s_nop 0
	v_writelane_b32 v65, s1, 1
	s_load_dword s0, s[2:3], 0x7c
	s_load_dword s5, s[2:3], 0x70
	s_waitcnt lgkmcnt(0)
	s_and_b32 s6, s0, 0xffff
	s_mul_i32 s4, s4, s6
	v_add_u32_e32 v6, s4, v1
	v_cmp_eq_u32_e64 s[10:11], 0, v6
	s_and_saveexec_b64 s[0:1], s[10:11]
; %bb.1:
	v_mov_b32_e32 v2, 0
	ds_write2_b32 v2, v2, v2 offset0:6 offset1:9
; %bb.2:
	s_or_b64 exec, exec, s[0:1]
	s_load_dword s34, s[2:3], 0x0
	s_load_dwordx8 s[20:27], s[2:3], 0x8
	s_load_dwordx8 s[12:19], s[2:3], 0x28
	s_load_dwordx2 s[8:9], s[2:3], 0x48
	s_load_dword s33, s[2:3], 0x50
	s_ashr_i32 s41, s40, 31
	s_waitcnt lgkmcnt(0)
	s_mul_hi_u32 s0, s22, s40
	s_mul_i32 s1, s22, s41
	s_add_i32 s0, s0, s1
	s_mul_i32 s1, s23, s40
	v_mov_b32_e32 v8, 0
	s_add_i32 s1, s0, s1
	s_mul_i32 s0, s22, s40
	s_barrier
	ds_read2_b32 v[2:3], v8 offset0:6 offset1:9
	s_lshl_b64 s[36:37], s[0:1], 3
	s_add_u32 s22, s20, s36
	s_mul_hi_u32 s0, s26, s40
	s_mul_i32 s1, s26, s41
	s_addc_u32 s23, s21, s37
	s_add_i32 s0, s0, s1
	s_mul_i32 s1, s27, s40
	s_add_i32 s45, s0, s1
	s_mul_hi_u32 s0, s16, s40
	s_mul_i32 s1, s16, s41
	s_mul_i32 s38, s5, s6
	s_add_i32 s0, s0, s1
	s_mul_i32 s1, s17, s40
	s_waitcnt lgkmcnt(0)
	v_cmp_gt_i32_e32 vcc, s34, v2
	v_cmp_gt_i32_e64 s[4:5], s33, v3
	s_add_i32 s17, s0, s1
	s_and_b64 s[0:1], vcc, s[4:5]
	s_mul_i32 s44, s26, s40
	s_ashr_i32 s27, s14, 31
	s_mov_b32 s26, s14
	s_mul_i32 s16, s16, s40
	v_readfirstlane_b32 s6, v2
	s_andn2_b64 vcc, exec, s[0:1]
	s_add_i32 s42, s34, -1
	s_cbranch_vccnz .LBB22_223
; %bb.3:
	s_lshl_b32 s4, s34, 1
	s_lshl_b64 s[0:1], s[44:45], 3
	s_add_u32 s48, s24, s0
	s_load_dwordx4 s[28:31], s[2:3], 0x58
	s_load_dwordx2 s[46:47], s[2:3], 0x68
	s_addc_u32 s49, s25, s1
	s_lshl_b64 s[2:3], s[16:17], 4
	s_add_u32 s0, s12, s2
	s_addc_u32 s1, s13, s3
	s_lshl_b64 s[66:67], s[26:27], 4
	s_add_u32 s14, s0, s66
	s_mul_hi_i32 s5, s4, s40
	s_mul_i32 s4, s4, s40
	s_addc_u32 s0, s1, s67
	s_lshl_b64 s[60:61], s[4:5], 3
	s_add_u32 s50, s8, s60
	s_addc_u32 s51, s9, s61
	s_ashr_i32 s35, s34, 31
	s_ashr_i32 s53, s15, 31
	s_add_u32 s54, s20, s36
	s_addc_u32 s55, s21, s37
	s_add_u32 s1, s54, 8
	s_addc_u32 s58, s55, 0
	s_ashr_i32 s39, s38, 31
	s_lshl_b64 s[56:57], s[38:39], 3
	s_lshl_b64 s[64:65], s[34:35], 3
	s_add_u32 s7, s60, s64
	s_addc_u32 s43, s61, s65
	s_add_u32 s7, s8, s7
	s_addc_u32 s8, s9, s43
	s_add_u32 s60, s7, -16
	s_addc_u32 s61, s8, -1
	s_add_u32 s8, s50, -8
	s_addc_u32 s9, s51, -1
	;; [unrolled: 2-line block ×4, first 2 shown]
	s_add_u32 s2, s2, s66
	s_addc_u32 s3, s3, s67
	s_mov_b32 s52, s15
	s_add_u32 s2, s12, s2
	s_addc_u32 s3, s13, s3
	s_lshl_b64 s[66:67], s[52:53], 4
	s_lshl_b64 s[68:69], s[38:39], 4
	s_sub_u32 s70, 0, s66
	v_writelane_b32 v65, s60, 2
	v_ashrrev_i32_e32 v7, 31, v6
	s_subb_u32 s71, 0, s67
	v_writelane_b32 v65, s61, 3
	v_lshl_add_u64 v[2:3], v[6:7], 4, s[2:3]
	s_add_u32 s72, s54, -8
	s_mov_b32 s76, 0
	s_mov_b32 s94, 0x667f3bcd
	s_waitcnt lgkmcnt(0)
	v_mul_f64 v[10:11], s[28:29], s[28:29]
	v_cmp_gt_i32_e64 s[4:5], s34, v6
	v_writelane_b32 v65, s8, 4
	v_lshl_add_u64 v[12:13], v[2:3], 0, 8
	s_addc_u32 s73, s55, -1
	s_mov_b32 s75, 0
	s_brev_b32 s77, 8
	v_mov_b32_e32 v7, 0x260
	s_mov_b32 s95, 0x3ff6a09e
	v_mov_b32_e32 v9, v8
	v_mov_b32_e32 v60, 0x100
	;; [unrolled: 1-line block ×3, first 2 shown]
	v_writelane_b32 v65, s9, 5
                                        ; implicit-def: $vgpr64
                                        ; implicit-def: $vgpr22_vgpr23
                                        ; implicit-def: $vgpr24_vgpr25
                                        ; implicit-def: $vgpr26_vgpr27
                                        ; implicit-def: $vgpr14_vgpr15
                                        ; implicit-def: $vgpr63
                                        ; implicit-def: $vgpr20_vgpr21
                                        ; implicit-def: $vgpr62
                                        ; implicit-def: $vgpr16_vgpr17
                                        ; implicit-def: $vgpr18_vgpr19
	s_branch .LBB22_7
.LBB22_4:                               ;   in Loop: Header=BB22_7 Depth=1
	s_or_b64 exec, exec, s[2:3]
.LBB22_5:                               ;   in Loop: Header=BB22_7 Depth=1
	s_barrier
.LBB22_6:                               ;   in Loop: Header=BB22_7 Depth=1
	ds_read2_b32 v[2:3], v8 offset0:6 offset1:9
	s_waitcnt lgkmcnt(0)
	v_cmp_gt_i32_e32 vcc, s34, v2
	v_cmp_gt_i32_e64 s[2:3], s33, v3
	s_and_b64 s[2:3], vcc, s[2:3]
	s_andn2_b64 vcc, exec, s[2:3]
	v_readfirstlane_b32 s6, v2
	s_cbranch_vccnz .LBB22_223
.LBB22_7:                               ; =>This Loop Header: Depth=1
                                        ;     Child Loop BB22_15 Depth 2
                                        ;     Child Loop BB22_28 Depth 2
	;; [unrolled: 1-line block ×5, first 2 shown]
                                        ;       Child Loop BB22_61 Depth 3
                                        ;       Child Loop BB22_81 Depth 3
	;; [unrolled: 1-line block ×3, first 2 shown]
                                        ;         Child Loop BB22_129 Depth 4
                                        ;     Child Loop BB22_133 Depth 2
                                        ;       Child Loop BB22_139 Depth 3
                                        ;       Child Loop BB22_159 Depth 3
	;; [unrolled: 1-line block ×3, first 2 shown]
                                        ;         Child Loop BB22_207 Depth 4
                                        ;     Child Loop BB22_215 Depth 2
                                        ;     Child Loop BB22_222 Depth 2
	s_and_saveexec_b64 s[2:3], s[10:11]
	s_cbranch_execz .LBB22_31
; %bb.8:                                ;   in Loop: Header=BB22_7 Depth=1
	s_cmp_lt_i32 s6, 1
	s_cbranch_scc1 .LBB22_10
; %bb.9:                                ;   in Loop: Header=BB22_7 Depth=1
	s_mov_b32 s7, s75
	s_lshl_b64 s[8:9], s[6:7], 3
	s_add_u32 s8, s48, s8
	s_addc_u32 s9, s49, s9
	global_store_dwordx2 v8, v[8:9], s[8:9] offset:-8
.LBB22_10:                              ;   in Loop: Header=BB22_7 Depth=1
	s_mov_b64 s[78:79], -1
	s_mov_b64 s[84:85], 0
	s_cmp_lt_i32 s6, s42
	s_mov_b64 s[8:9], 0
	s_cbranch_scc1 .LBB22_12
; %bb.11:                               ;   in Loop: Header=BB22_7 Depth=1
	s_ashr_i32 s7, s6, 31
	s_mov_b64 s[78:79], 0
	s_mov_b64 s[8:9], -1
.LBB22_12:                              ;   in Loop: Header=BB22_7 Depth=1
	s_andn2_b64 vcc, exec, s[78:79]
	s_cbranch_vccnz .LBB22_17
; %bb.13:                               ;   in Loop: Header=BB22_7 Depth=1
	s_ashr_i32 s7, s6, 31
	s_lshl_b64 s[78:79], s[6:7], 3
	s_add_u32 s86, s48, s78
	s_addc_u32 s87, s49, s79
	s_add_u32 s84, s1, s78
	s_addc_u32 s85, s58, s79
	s_mov_b64 s[88:89], s[6:7]
	s_branch .LBB22_15
.LBB22_14:                              ;   in Loop: Header=BB22_15 Depth=2
	s_andn2_b64 vcc, exec, s[78:79]
	s_cbranch_vccz .LBB22_18
.LBB22_15:                              ;   Parent Loop BB22_7 Depth=1
                                        ; =>  This Inner Loop Header: Depth=2
	global_load_dwordx4 v[2:5], v8, s[84:85] offset:-8
	global_load_dwordx2 v[22:23], v8, s[86:87]
	s_mov_b64 s[80:81], s[86:87]
	s_mov_b64 s[82:83], s[88:89]
	s_mov_b64 s[90:91], -1
                                        ; implicit-def: $sgpr88_sgpr89
                                        ; implicit-def: $sgpr86_sgpr87
	s_waitcnt vmcnt(1)
	v_cmp_lt_f64_e64 s[78:79], |v[2:3]|, s[76:77]
	v_cmp_lt_f64_e64 s[92:93], |v[4:5]|, s[76:77]
	s_and_b64 s[78:79], s[78:79], exec
	s_cselect_b32 s39, 0x100, 0
	s_cselect_b32 s43, 0xffffff80, 0
	s_and_b64 s[78:79], s[92:93], exec
	v_ldexp_f64 v[2:3], |v[2:3]|, s39
	s_cselect_b32 s39, 0x100, 0
	v_rsq_f64_e32 v[24:25], v[2:3]
	v_ldexp_f64 v[4:5], |v[4:5]|, s39
	v_rsq_f64_e32 v[26:27], v[4:5]
	s_cselect_b32 s59, 0xffffff80, 0
	v_mul_f64 v[28:29], v[2:3], v[24:25]
	v_mul_f64 v[24:25], v[24:25], 0.5
	v_fma_f64 v[30:31], -v[24:25], v[28:29], 0.5
	v_mul_f64 v[32:33], v[4:5], v[26:27]
	v_mul_f64 v[26:27], v[26:27], 0.5
	v_fmac_f64_e32 v[28:29], v[28:29], v[30:31]
	v_fmac_f64_e32 v[24:25], v[24:25], v[30:31]
	v_fma_f64 v[30:31], -v[26:27], v[32:33], 0.5
	v_fma_f64 v[34:35], -v[28:29], v[28:29], v[2:3]
	v_fmac_f64_e32 v[32:33], v[32:33], v[30:31]
	v_fmac_f64_e32 v[26:27], v[26:27], v[30:31]
	;; [unrolled: 1-line block ×3, first 2 shown]
	v_fma_f64 v[30:31], -v[32:33], v[32:33], v[4:5]
	v_fma_f64 v[34:35], -v[28:29], v[28:29], v[2:3]
	v_fmac_f64_e32 v[32:33], v[30:31], v[26:27]
	v_fmac_f64_e32 v[28:29], v[34:35], v[24:25]
	v_fma_f64 v[24:25], -v[32:33], v[32:33], v[4:5]
	v_ldexp_f64 v[28:29], v[28:29], s43
	v_fmac_f64_e32 v[32:33], v[24:25], v[26:27]
	v_cmp_class_f64_e32 vcc, v[2:3], v7
	v_ldexp_f64 v[24:25], v[32:33], s59
	s_nop 0
	v_cndmask_b32_e32 v3, v29, v3, vcc
	v_cndmask_b32_e32 v2, v28, v2, vcc
	v_cmp_class_f64_e32 vcc, v[4:5], v7
	s_nop 1
	v_cndmask_b32_e32 v5, v25, v5, vcc
	v_cndmask_b32_e32 v4, v24, v4, vcc
	v_mul_f64 v[2:3], v[2:3], v[4:5]
	v_mul_f64 v[2:3], s[28:29], v[2:3]
	s_waitcnt vmcnt(0)
	v_cmp_nle_f64_e64 s[78:79], |v[22:23]|, v[2:3]
	s_and_b64 vcc, exec, s[78:79]
	s_mov_b64 s[78:79], -1
	s_cbranch_vccz .LBB22_14
; %bb.16:                               ;   in Loop: Header=BB22_15 Depth=2
	s_add_u32 s88, s82, 1
	s_addc_u32 s89, s83, 0
	s_add_u32 s86, s80, 8
	s_addc_u32 s87, s81, 0
	;; [unrolled: 2-line block ×3, first 2 shown]
	s_cmp_ge_i32 s88, s42
	s_mov_b64 s[90:91], 0
	s_cselect_b64 s[78:79], -1, 0
	s_branch .LBB22_14
.LBB22_17:                              ;   in Loop: Header=BB22_7 Depth=1
	s_mov_b32 s39, s6
	s_mov_b64 s[78:79], s[6:7]
	s_and_b64 vcc, exec, s[8:9]
	s_cbranch_vccnz .LBB22_21
	s_branch .LBB22_22
.LBB22_18:                              ;   in Loop: Header=BB22_7 Depth=1
	s_xor_b64 s[60:61], s[90:91], -1
	s_mov_b64 s[84:85], -1
	s_and_b64 vcc, exec, s[60:61]
                                        ; implicit-def: $sgpr78_sgpr79
	s_cbranch_vccz .LBB22_20
; %bb.19:                               ;   in Loop: Header=BB22_7 Depth=1
	s_ashr_i32 s43, s42, 31
	s_mov_b64 s[8:9], -1
	s_mov_b64 s[84:85], 0
	s_mov_b64 s[78:79], s[42:43]
.LBB22_20:                              ;   in Loop: Header=BB22_7 Depth=1
	v_mov_b32_e32 v64, s82
	v_mov_b64_e32 v[22:23], s[82:83]
	v_mov_b64_e32 v[24:25], s[80:81]
	;; [unrolled: 1-line block ×3, first 2 shown]
	s_mov_b32 s39, s42
	s_and_b64 vcc, exec, s[8:9]
	s_cbranch_vccz .LBB22_22
.LBB22_21:                              ;   in Loop: Header=BB22_7 Depth=1
	v_mov_b32_e32 v2, s39
	ds_write_b32 v8, v2 offset:20
.LBB22_22:                              ;   in Loop: Header=BB22_7 Depth=1
	s_andn2_b64 vcc, exec, s[84:85]
	v_mov_b64_e32 v[4:5], s[6:7]
	v_mov_b64_e32 v[2:3], s[78:79]
	v_mov_b32_e32 v30, s39
	s_cbranch_vccnz .LBB22_24
; %bb.23:                               ;   in Loop: Header=BB22_7 Depth=1
	v_mov_b64_e32 v[4:5], v[26:27]
	v_mov_b64_e32 v[2:3], v[22:23]
	v_mov_b32_e32 v30, v64
	ds_write_b32 v8, v64 offset:20
	global_store_dwordx2 v[24:25], v[8:9], off
.LBB22_24:                              ;   in Loop: Header=BB22_7 Depth=1
	v_lshl_add_u64 v[2:3], v[2:3], 3, s[22:23]
	v_lshl_add_u64 v[28:29], v[4:5], 3, s[22:23]
	global_load_dwordx2 v[2:3], v[2:3], off
	s_nop 0
	global_load_dwordx2 v[28:29], v[28:29], off
	v_mov_b32_e32 v31, s6
	v_add_u32_e32 v32, 1, v30
	v_mov_b32_e32 v33, s6
	ds_write_b32 v8, v31 offset:16
	ds_write2_b32 v8, v30, v30 offset0:8 offset1:10
	ds_write_b64 v8, v[32:33] offset:24
	s_waitcnt vmcnt(0)
	v_cmp_lt_f64_e64 s[78:79], |v[2:3]|, |v[28:29]|
	s_and_saveexec_b64 s[8:9], s[78:79]
; %bb.25:                               ;   in Loop: Header=BB22_7 Depth=1
	v_mov_b32_e32 v28, s6
	ds_write2_b32 v8, v30, v28 offset0:4 offset1:8
; %bb.26:                               ;   in Loop: Header=BB22_7 Depth=1
	s_or_b64 exec, exec, s[8:9]
	v_and_b32_e32 v3, 0x7fffffff, v3
	v_cmp_lt_i32_e32 vcc, s6, v30
	s_and_saveexec_b64 s[8:9], vcc
	s_cbranch_execz .LBB22_30
; %bb.27:                               ;   in Loop: Header=BB22_7 Depth=1
	v_lshlrev_b64 v[28:29], 3, v[4:5]
	v_lshl_add_u64 v[4:5], s[54:55], 0, v[28:29]
	v_lshl_add_u64 v[28:29], s[48:49], 0, v[28:29]
	s_mov_b64 s[78:79], 0
.LBB22_28:                              ;   Parent Loop BB22_7 Depth=1
                                        ; =>  This Inner Loop Header: Depth=2
	global_load_dwordx2 v[32:33], v[28:29], off
	global_load_dwordx2 v[34:35], v[4:5], off
	s_add_i32 s6, s6, 1
	v_max_f64 v[2:3], v[2:3], v[2:3]
	v_cmp_ge_i32_e32 vcc, s6, v30
	v_lshl_add_u64 v[4:5], v[4:5], 0, 8
	v_lshl_add_u64 v[28:29], v[28:29], 0, 8
	s_or_b64 s[78:79], vcc, s[78:79]
	s_waitcnt vmcnt(1)
	v_max_f64 v[32:33], |v[32:33]|, |v[32:33]|
	s_waitcnt vmcnt(0)
	v_max_f64 v[34:35], |v[34:35]|, |v[34:35]|
	v_max_f64 v[32:33], v[34:35], v[32:33]
	v_max_f64 v[2:3], v[2:3], v[32:33]
	s_andn2_b64 exec, exec, s[78:79]
	s_cbranch_execnz .LBB22_28
; %bb.29:                               ;   in Loop: Header=BB22_7 Depth=1
	s_or_b64 exec, exec, s[78:79]
.LBB22_30:                              ;   in Loop: Header=BB22_7 Depth=1
	s_or_b64 exec, exec, s[8:9]
	ds_write_b64 v8, v[2:3] offset:8
.LBB22_31:                              ;   in Loop: Header=BB22_7 Depth=1
	s_or_b64 exec, exec, s[2:3]
	s_waitcnt lgkmcnt(0)
	s_barrier
	ds_read2_b32 v[4:5], v8 offset0:4 offset1:8
	ds_read_b64 v[2:3], v8 offset:8
	s_waitcnt lgkmcnt(1)
	v_cmp_eq_u32_e32 vcc, v5, v4
	s_waitcnt lgkmcnt(0)
	v_cmp_eq_f64_e64 s[2:3], 0, v[2:3]
	s_or_b64 s[2:3], vcc, s[2:3]
	s_and_b64 vcc, exec, s[2:3]
	s_cbranch_vccnz .LBB22_6
; %bb.32:                               ;   in Loop: Header=BB22_7 Depth=1
	v_cmp_nlt_f64_e32 vcc, s[46:47], v[2:3]
	s_mov_b64 s[2:3], -1
	s_cbranch_vccz .LBB22_41
; %bb.33:                               ;   in Loop: Header=BB22_7 Depth=1
	v_cmp_ngt_f64_e32 vcc, s[30:31], v[2:3]
	s_cbranch_vccnz .LBB22_40
; %bb.34:                               ;   in Loop: Header=BB22_7 Depth=1
	v_div_scale_f64 v[28:29], s[2:3], s[30:31], s[30:31], v[2:3]
	v_rcp_f64_e32 v[30:31], v[28:29]
	ds_read2_b32 v[4:5], v8 offset0:7 offset1:10
	v_fma_f64 v[32:33], -v[28:29], v[30:31], 1.0
	v_fmac_f64_e32 v[30:31], v[30:31], v[32:33]
	v_fma_f64 v[32:33], -v[28:29], v[30:31], 1.0
	v_fmac_f64_e32 v[30:31], v[30:31], v[32:33]
	v_div_scale_f64 v[32:33], vcc, v[2:3], s[30:31], v[2:3]
	v_mul_f64 v[34:35], v[32:33], v[30:31]
	v_fma_f64 v[28:29], -v[28:29], v[34:35], v[32:33]
	s_nop 1
	v_div_fmas_f64 v[28:29], v[28:29], v[30:31], v[34:35]
	v_div_fixup_f64 v[28:29], v[28:29], s[30:31], v[2:3]
	s_and_saveexec_b64 s[2:3], s[10:11]
	s_cbranch_execz .LBB22_36
; %bb.35:                               ;   in Loop: Header=BB22_7 Depth=1
	s_waitcnt lgkmcnt(0)
	v_ashrrev_i32_e32 v31, 31, v5
	v_mov_b32_e32 v30, v5
	v_lshlrev_b64 v[30:31], 3, v[30:31]
	v_lshl_add_u64 v[30:31], s[22:23], 0, v[30:31]
	global_load_dwordx2 v[32:33], v[30:31], off
	s_waitcnt vmcnt(0)
	v_mul_f64 v[32:33], v[28:29], v[32:33]
	global_store_dwordx2 v[30:31], v[32:33], off
.LBB22_36:                              ;   in Loop: Header=BB22_7 Depth=1
	s_or_b64 exec, exec, s[2:3]
	s_waitcnt lgkmcnt(0)
	v_add_u32_e32 v30, v4, v6
	v_cmp_lt_i32_e32 vcc, v30, v5
	s_and_saveexec_b64 s[2:3], vcc
	s_cbranch_execz .LBB22_39
; %bb.37:                               ;   in Loop: Header=BB22_7 Depth=1
	v_ashrrev_i32_e32 v31, 31, v30
	v_lshlrev_b64 v[32:33], 3, v[30:31]
	s_mov_b64 s[6:7], 0
.LBB22_38:                              ;   Parent Loop BB22_7 Depth=1
                                        ; =>  This Inner Loop Header: Depth=2
	v_lshl_add_u64 v[34:35], s[22:23], 0, v[32:33]
	global_load_dwordx2 v[36:37], v[34:35], off
	v_lshl_add_u64 v[38:39], s[48:49], 0, v[32:33]
	v_add_u32_e32 v30, s38, v30
	v_cmp_ge_i32_e32 vcc, v30, v5
	v_lshl_add_u64 v[32:33], v[32:33], 0, s[56:57]
	s_or_b64 s[6:7], vcc, s[6:7]
	s_waitcnt vmcnt(0)
	v_mul_f64 v[36:37], v[28:29], v[36:37]
	global_store_dwordx2 v[34:35], v[36:37], off
	global_load_dwordx2 v[34:35], v[38:39], off
	s_waitcnt vmcnt(0)
	v_mul_f64 v[34:35], v[28:29], v[34:35]
	global_store_dwordx2 v[38:39], v[34:35], off
	s_andn2_b64 exec, exec, s[6:7]
	s_cbranch_execnz .LBB22_38
.LBB22_39:                              ;   in Loop: Header=BB22_7 Depth=1
	s_or_b64 exec, exec, s[2:3]
.LBB22_40:                              ;   in Loop: Header=BB22_7 Depth=1
	s_mov_b64 s[2:3], 0
.LBB22_41:                              ;   in Loop: Header=BB22_7 Depth=1
	s_andn2_b64 vcc, exec, s[2:3]
	s_cbranch_vccnz .LBB22_48
; %bb.42:                               ;   in Loop: Header=BB22_7 Depth=1
	v_div_scale_f64 v[28:29], s[2:3], s[46:47], s[46:47], v[2:3]
	v_rcp_f64_e32 v[30:31], v[28:29]
	ds_read2_b32 v[4:5], v8 offset0:7 offset1:10
	v_fma_f64 v[32:33], -v[28:29], v[30:31], 1.0
	v_fmac_f64_e32 v[30:31], v[30:31], v[32:33]
	v_fma_f64 v[32:33], -v[28:29], v[30:31], 1.0
	v_fmac_f64_e32 v[30:31], v[30:31], v[32:33]
	v_div_scale_f64 v[32:33], vcc, v[2:3], s[46:47], v[2:3]
	v_mul_f64 v[34:35], v[32:33], v[30:31]
	v_fma_f64 v[28:29], -v[28:29], v[34:35], v[32:33]
	s_nop 1
	v_div_fmas_f64 v[28:29], v[28:29], v[30:31], v[34:35]
	v_div_fixup_f64 v[2:3], v[28:29], s[46:47], v[2:3]
	s_and_saveexec_b64 s[2:3], s[10:11]
	s_cbranch_execz .LBB22_44
; %bb.43:                               ;   in Loop: Header=BB22_7 Depth=1
	s_waitcnt lgkmcnt(0)
	v_ashrrev_i32_e32 v29, 31, v5
	v_mov_b32_e32 v28, v5
	v_lshlrev_b64 v[28:29], 3, v[28:29]
	v_lshl_add_u64 v[28:29], s[22:23], 0, v[28:29]
	global_load_dwordx2 v[30:31], v[28:29], off
	s_waitcnt vmcnt(0)
	v_mul_f64 v[30:31], v[2:3], v[30:31]
	global_store_dwordx2 v[28:29], v[30:31], off
.LBB22_44:                              ;   in Loop: Header=BB22_7 Depth=1
	s_or_b64 exec, exec, s[2:3]
	s_waitcnt lgkmcnt(0)
	v_add_u32_e32 v28, v4, v6
	v_cmp_lt_i32_e32 vcc, v28, v5
	s_and_saveexec_b64 s[2:3], vcc
	s_cbranch_execz .LBB22_47
; %bb.45:                               ;   in Loop: Header=BB22_7 Depth=1
	v_ashrrev_i32_e32 v29, 31, v28
	v_lshlrev_b64 v[30:31], 3, v[28:29]
	s_mov_b64 s[6:7], 0
.LBB22_46:                              ;   Parent Loop BB22_7 Depth=1
                                        ; =>  This Inner Loop Header: Depth=2
	v_lshl_add_u64 v[32:33], s[22:23], 0, v[30:31]
	global_load_dwordx2 v[34:35], v[32:33], off
	v_lshl_add_u64 v[36:37], s[48:49], 0, v[30:31]
	v_add_u32_e32 v28, s38, v28
	v_cmp_ge_i32_e32 vcc, v28, v5
	v_lshl_add_u64 v[30:31], v[30:31], 0, s[56:57]
	s_or_b64 s[6:7], vcc, s[6:7]
	s_waitcnt vmcnt(0)
	v_mul_f64 v[34:35], v[2:3], v[34:35]
	global_store_dwordx2 v[32:33], v[34:35], off
	global_load_dwordx2 v[32:33], v[36:37], off
	s_waitcnt vmcnt(0)
	v_mul_f64 v[32:33], v[2:3], v[32:33]
	global_store_dwordx2 v[36:37], v[32:33], off
	s_andn2_b64 exec, exec, s[6:7]
	s_cbranch_execnz .LBB22_46
.LBB22_47:                              ;   in Loop: Header=BB22_7 Depth=1
	s_or_b64 exec, exec, s[2:3]
.LBB22_48:                              ;   in Loop: Header=BB22_7 Depth=1
	s_barrier
	ds_read_b32 v28, v8 offset:16
	ds_read_b64 v[30:31], v8 offset:32
	s_mov_b64 s[8:9], -1
                                        ; implicit-def: $vgpr34_vgpr35
                                        ; implicit-def: $vgpr32_vgpr33
                                        ; implicit-def: $vgpr29
	s_waitcnt lgkmcnt(0)
	v_cmp_gt_i32_e64 s[2:3], s33, v31
	v_cmp_lt_i32_e32 vcc, v30, v28
	s_nop 0
	v_cndmask_b32_e64 v2, 0, 1, s[2:3]
	v_cmp_ne_u32_e64 s[6:7], 1, v2
	s_cbranch_vccnz .LBB22_51
; %bb.49:                               ;   in Loop: Header=BB22_7 Depth=1
	s_and_b64 vcc, exec, s[6:7]
	v_mov_b64_e32 v[34:35], v[18:19]
	v_mov_b64_e32 v[32:33], v[16:17]
	v_mov_b32_e32 v29, v62
	v_mov_b32_e32 v43, v31
	;; [unrolled: 1-line block ×4, first 2 shown]
	s_cbranch_vccz .LBB22_55
.LBB22_50:                              ;   in Loop: Header=BB22_7 Depth=1
	s_mov_b64 s[8:9], 0
.LBB22_51:                              ;   in Loop: Header=BB22_7 Depth=1
	s_andn2_b64 vcc, exec, s[8:9]
	s_cbranch_vccnz .LBB22_209
; %bb.52:                               ;   in Loop: Header=BB22_7 Depth=1
	s_and_b64 vcc, exec, s[6:7]
	s_cbranch_vccz .LBB22_133
	s_branch .LBB22_210
.LBB22_53:                              ;   in Loop: Header=BB22_55 Depth=2
	s_or_b64 exec, exec, s[2:3]
	s_barrier
	ds_read_b32 v36, v8 offset:16
.LBB22_54:                              ;   in Loop: Header=BB22_55 Depth=2
	ds_read_b64 v[42:43], v8 offset:32
	s_waitcnt lgkmcnt(0)
	v_cmp_le_i32_e32 vcc, v36, v42
	v_cmp_gt_i32_e64 s[2:3], s33, v43
	s_and_b64 s[2:3], vcc, s[2:3]
	s_andn2_b64 vcc, exec, s[2:3]
	s_cbranch_vccnz .LBB22_50
.LBB22_55:                              ;   Parent Loop BB22_7 Depth=1
                                        ; =>  This Loop Header: Depth=2
                                        ;       Child Loop BB22_61 Depth 3
                                        ;       Child Loop BB22_81 Depth 3
	;; [unrolled: 1-line block ×3, first 2 shown]
                                        ;         Child Loop BB22_129 Depth 4
	s_and_saveexec_b64 s[2:3], s[10:11]
	s_cbranch_execz .LBB22_124
; %bb.56:                               ;   in Loop: Header=BB22_55 Depth=2
	v_cmp_lt_i32_e32 vcc, v36, v42
	s_mov_b64 s[8:9], 0
	s_cbranch_vccnz .LBB22_58
; %bb.57:                               ;   in Loop: Header=BB22_55 Depth=2
	v_ashrrev_i32_e32 v37, 31, v36
	s_mov_b64 s[78:79], -1
	v_mov_b64_e32 v[40:41], v[36:37]
	v_mov_b32_e32 v2, v36
	s_cbranch_execz .LBB22_59
	s_branch .LBB22_64
.LBB22_58:                              ;   in Loop: Header=BB22_55 Depth=2
                                        ; implicit-def: $vgpr40_vgpr41
	s_mov_b64 s[78:79], 0
	v_mov_b32_e32 v2, v36
.LBB22_59:                              ;   in Loop: Header=BB22_55 Depth=2
	v_ashrrev_i32_e32 v37, 31, v36
	v_lshlrev_b64 v[2:3], 3, v[36:37]
	v_lshl_add_u64 v[4:5], s[48:49], 0, v[2:3]
	v_lshl_add_u64 v[2:3], s[54:55], 0, v[2:3]
	v_mov_b32_e32 v34, v36
	s_branch .LBB22_61
.LBB22_60:                              ;   in Loop: Header=BB22_61 Depth=3
	v_add_u32_e32 v34, 1, v29
	v_lshl_add_u64 v[4:5], v[32:33], 0, 8
	v_lshl_add_u64 v[2:3], v[2:3], 0, 8
	s_mov_b64 s[8:9], 0
	v_cmp_ge_i32_e64 s[78:79], v34, v42
	s_andn2_b64 vcc, exec, s[78:79]
	s_cbranch_vccz .LBB22_63
.LBB22_61:                              ;   Parent Loop BB22_7 Depth=1
                                        ;     Parent Loop BB22_55 Depth=2
                                        ; =>    This Inner Loop Header: Depth=3
	v_mov_b64_e32 v[32:33], v[4:5]
	global_load_dwordx4 v[38:41], v[2:3], off
	s_nop 0
	global_load_dwordx2 v[4:5], v[4:5], off
	v_mov_b32_e32 v29, v34
	s_waitcnt vmcnt(1)
	v_mul_f64 v[34:35], v[38:39], v[40:41]
	s_waitcnt vmcnt(0)
	v_mul_f64 v[4:5], v[4:5], v[4:5]
	v_mul_f64 v[34:35], v[10:11], |v[34:35]|
	v_cmp_le_f64_e64 s[8:9], |v[4:5]|, v[34:35]
	s_and_b64 vcc, exec, s[8:9]
	s_cbranch_vccz .LBB22_60
; %bb.62:                               ;   in Loop: Header=BB22_55 Depth=2
	s_mov_b64 s[8:9], -1
                                        ; implicit-def: $vgpr34
                                        ; implicit-def: $vgpr4_vgpr5
                                        ; implicit-def: $vgpr2_vgpr3
.LBB22_63:                              ;   in Loop: Header=BB22_55 Depth=2
	s_xor_b64 s[78:79], s[8:9], -1
	s_mov_b64 s[8:9], -1
	v_mov_b64_e32 v[34:35], v[36:37]
	v_mov_b32_e32 v2, v42
	v_mov_b64_e32 v[40:41], v[36:37]
.LBB22_64:                              ;   in Loop: Header=BB22_55 Depth=2
	s_and_b64 vcc, exec, s[78:79]
	s_cbranch_vccnz .LBB22_93
; %bb.65:                               ;   in Loop: Header=BB22_55 Depth=2
	s_andn2_b64 vcc, exec, s[8:9]
	s_cbranch_vccnz .LBB22_67
.LBB22_66:                              ;   in Loop: Header=BB22_55 Depth=2
	v_mov_b64_e32 v[40:41], v[34:35]
	v_mov_b32_e32 v2, v29
	ds_write2_b32 v8, v29, v36 offset0:5 offset1:7
	global_store_dwordx2 v[32:33], v[8:9], off
.LBB22_67:                              ;   in Loop: Header=BB22_55 Depth=2
	v_lshl_add_u64 v[38:39], v[40:41], 3, s[22:23]
	global_load_dwordx2 v[46:47], v[38:39], off
	v_cmp_ne_u32_e32 vcc, v2, v36
	v_add_u32_e32 v3, 1, v36
	s_waitcnt vmcnt(0)
	ds_write_b64 v8, v[46:47]
	s_and_saveexec_b64 s[8:9], vcc
	s_xor_b64 s[80:81], exec, s[8:9]
	s_cbranch_execz .LBB22_121
; %bb.68:                               ;   in Loop: Header=BB22_55 Depth=2
	v_cmp_ne_u32_e32 vcc, v2, v3
	s_and_saveexec_b64 s[8:9], vcc
	s_xor_b64 s[8:9], exec, s[8:9]
	s_cbranch_execz .LBB22_97
; %bb.69:                               ;   in Loop: Header=BB22_55 Depth=2
	v_lshl_add_u64 v[4:5], v[40:41], 3, s[48:49]
	global_load_dwordx2 v[44:45], v[38:39], off offset:8
	global_load_dwordx2 v[52:53], v[4:5], off
	v_ashrrev_i32_e32 v3, 31, v2
	v_lshl_add_u64 v[48:49], v[2:3], 3, s[22:23]
	global_load_dwordx2 v[50:51], v[48:49], off
	v_add_u32_e32 v37, 1, v43
	ds_write_b64 v8, v[8:9]
	ds_write_b32 v8, v37 offset:36
	v_mov_b64_e32 v[40:41], 0
	s_waitcnt vmcnt(2)
	v_add_f64 v[42:43], v[44:45], -v[46:47]
	s_waitcnt vmcnt(1)
	v_add_f64 v[44:45], v[52:53], v[52:53]
	v_div_scale_f64 v[54:55], s[78:79], v[44:45], v[44:45], v[42:43]
	v_rcp_f64_e32 v[56:57], v[54:55]
	v_div_scale_f64 v[58:59], vcc, v[42:43], v[44:45], v[42:43]
	v_fma_f64 v[66:67], -v[54:55], v[56:57], 1.0
	v_fmac_f64_e32 v[56:57], v[56:57], v[66:67]
	v_fma_f64 v[66:67], -v[54:55], v[56:57], 1.0
	v_fmac_f64_e32 v[56:57], v[56:57], v[66:67]
	v_mul_f64 v[66:67], v[58:59], v[56:57]
	v_fma_f64 v[54:55], -v[54:55], v[66:67], v[58:59]
	v_div_fmas_f64 v[54:55], v[54:55], v[56:57], v[66:67]
	v_div_fixup_f64 v[42:43], v[54:55], v[44:45], v[42:43]
	v_fma_f64 v[44:45], v[42:43], v[42:43], 1.0
	v_cmp_gt_f64_e32 vcc, s[76:77], v[44:45]
	s_nop 1
	v_cndmask_b32_e32 v54, 0, v60, vcc
	v_ldexp_f64 v[44:45], v[44:45], v54
	v_rsq_f64_e32 v[54:55], v[44:45]
	v_cndmask_b32_e32 v37, 0, v61, vcc
	v_cmp_class_f64_e32 vcc, v[44:45], v7
	v_mul_f64 v[56:57], v[44:45], v[54:55]
	v_mul_f64 v[54:55], v[54:55], 0.5
	v_fma_f64 v[58:59], -v[54:55], v[56:57], 0.5
	v_fmac_f64_e32 v[56:57], v[56:57], v[58:59]
	v_fmac_f64_e32 v[54:55], v[54:55], v[58:59]
	v_fma_f64 v[58:59], -v[56:57], v[56:57], v[44:45]
	v_fmac_f64_e32 v[56:57], v[58:59], v[54:55]
	v_fma_f64 v[58:59], -v[56:57], v[56:57], v[44:45]
	v_fmac_f64_e32 v[56:57], v[58:59], v[54:55]
	v_ldexp_f64 v[54:55], v[56:57], v37
	v_cndmask_b32_e32 v37, v55, v45, vcc
	v_cndmask_b32_e32 v44, v54, v44, vcc
	v_and_b32_e32 v45, 0x7fffffff, v37
	v_or_b32_e32 v37, 0x80000000, v37
	v_cmp_nle_f64_e32 vcc, 0, v[42:43]
	s_waitcnt vmcnt(0)
	v_add_f64 v[56:57], v[50:51], -v[46:47]
	v_cndmask_b32_e32 v45, v45, v37, vcc
	v_add_f64 v[42:43], v[42:43], v[44:45]
	v_div_scale_f64 v[44:45], s[78:79], v[42:43], v[42:43], v[52:53]
	v_rcp_f64_e32 v[54:55], v[44:45]
	v_div_scale_f64 v[58:59], vcc, v[52:53], v[42:43], v[52:53]
	v_fma_f64 v[66:67], -v[44:45], v[54:55], 1.0
	v_fmac_f64_e32 v[54:55], v[54:55], v[66:67]
	v_fma_f64 v[66:67], -v[44:45], v[54:55], 1.0
	v_fmac_f64_e32 v[54:55], v[54:55], v[66:67]
	v_mul_f64 v[66:67], v[58:59], v[54:55]
	v_fma_f64 v[44:45], -v[44:45], v[66:67], v[58:59]
	v_div_fmas_f64 v[44:45], v[44:45], v[54:55], v[66:67]
	v_div_fixup_f64 v[42:43], v[44:45], v[42:43], v[52:53]
	v_add_f64 v[42:43], v[56:57], v[42:43]
	v_cmp_gt_i32_e32 vcc, v2, v36
	s_and_saveexec_b64 s[82:83], vcc
	s_cbranch_execz .LBB22_96
; %bb.70:                               ;   in Loop: Header=BB22_55 Depth=2
	v_lshl_add_u64 v[40:41], v[2:3], 3, s[48:49]
	global_load_dwordx2 v[46:47], v[40:41], off offset:-8
	v_mov_b64_e32 v[52:53], 0
	v_mov_b64_e32 v[44:45], 1.0
	s_waitcnt vmcnt(0)
	v_cmp_neq_f64_e32 vcc, 0, v[46:47]
	s_and_saveexec_b64 s[84:85], vcc
	s_cbranch_execz .LBB22_78
; %bb.71:                               ;   in Loop: Header=BB22_55 Depth=2
	v_mov_b64_e32 v[44:45], 0
	v_cmp_neq_f64_e32 vcc, 0, v[42:43]
	v_mov_b64_e32 v[52:53], 1.0
	s_and_saveexec_b64 s[86:87], vcc
	s_cbranch_execz .LBB22_77
; %bb.72:                               ;   in Loop: Header=BB22_55 Depth=2
	v_cmp_ngt_f64_e64 s[78:79], |v[46:47]|, |v[42:43]|
                                        ; implicit-def: $vgpr52_vgpr53
                                        ; implicit-def: $vgpr44_vgpr45
	s_and_saveexec_b64 s[88:89], s[78:79]
	s_xor_b64 s[78:79], exec, s[88:89]
	s_cbranch_execz .LBB22_74
; %bb.73:                               ;   in Loop: Header=BB22_55 Depth=2
	v_div_scale_f64 v[40:41], s[88:89], v[42:43], v[42:43], -v[46:47]
	v_rcp_f64_e32 v[44:45], v[40:41]
	v_div_scale_f64 v[52:53], vcc, -v[46:47], v[42:43], -v[46:47]
	v_fma_f64 v[54:55], -v[40:41], v[44:45], 1.0
	v_fmac_f64_e32 v[44:45], v[44:45], v[54:55]
	v_fma_f64 v[54:55], -v[40:41], v[44:45], 1.0
	v_fmac_f64_e32 v[44:45], v[44:45], v[54:55]
	v_mul_f64 v[54:55], v[52:53], v[44:45]
	v_fma_f64 v[40:41], -v[40:41], v[54:55], v[52:53]
	v_div_fmas_f64 v[40:41], v[40:41], v[44:45], v[54:55]
	v_div_fixup_f64 v[40:41], v[40:41], v[42:43], -v[46:47]
	v_fma_f64 v[42:43], v[40:41], v[40:41], 1.0
	v_cmp_gt_f64_e32 vcc, s[76:77], v[42:43]
	s_nop 1
	v_cndmask_b32_e32 v37, 0, v60, vcc
	v_ldexp_f64 v[42:43], v[42:43], v37
	v_rsq_f64_e32 v[44:45], v[42:43]
	v_cndmask_b32_e32 v37, 0, v61, vcc
	v_cmp_class_f64_e32 vcc, v[42:43], v7
	v_mul_f64 v[52:53], v[42:43], v[44:45]
	v_mul_f64 v[44:45], v[44:45], 0.5
	v_fma_f64 v[54:55], -v[44:45], v[52:53], 0.5
	v_fmac_f64_e32 v[52:53], v[52:53], v[54:55]
	v_fma_f64 v[56:57], -v[52:53], v[52:53], v[42:43]
	v_fmac_f64_e32 v[44:45], v[44:45], v[54:55]
	v_fmac_f64_e32 v[52:53], v[56:57], v[44:45]
	v_fma_f64 v[54:55], -v[52:53], v[52:53], v[42:43]
	v_fmac_f64_e32 v[52:53], v[54:55], v[44:45]
	v_ldexp_f64 v[44:45], v[52:53], v37
	v_cndmask_b32_e32 v43, v45, v43, vcc
	v_cndmask_b32_e32 v42, v44, v42, vcc
	v_div_scale_f64 v[44:45], s[88:89], v[42:43], v[42:43], 1.0
	v_rcp_f64_e32 v[52:53], v[44:45]
	s_nop 0
	v_fma_f64 v[54:55], -v[44:45], v[52:53], 1.0
	v_fmac_f64_e32 v[52:53], v[52:53], v[54:55]
	v_fma_f64 v[54:55], -v[44:45], v[52:53], 1.0
	v_fmac_f64_e32 v[52:53], v[52:53], v[54:55]
	v_div_scale_f64 v[54:55], vcc, 1.0, v[42:43], 1.0
	v_mul_f64 v[56:57], v[54:55], v[52:53]
	v_fma_f64 v[44:45], -v[44:45], v[56:57], v[54:55]
	s_nop 1
	v_div_fmas_f64 v[44:45], v[44:45], v[52:53], v[56:57]
	v_div_fixup_f64 v[44:45], v[44:45], v[42:43], 1.0
	v_mul_f64 v[52:53], v[40:41], v[44:45]
                                        ; implicit-def: $vgpr42_vgpr43
.LBB22_74:                              ;   in Loop: Header=BB22_55 Depth=2
	s_andn2_saveexec_b64 s[78:79], s[78:79]
	s_cbranch_execz .LBB22_76
; %bb.75:                               ;   in Loop: Header=BB22_55 Depth=2
	v_div_scale_f64 v[40:41], s[88:89], v[46:47], v[46:47], -v[42:43]
	v_rcp_f64_e32 v[44:45], v[40:41]
	v_div_scale_f64 v[52:53], vcc, -v[42:43], v[46:47], -v[42:43]
	v_fma_f64 v[54:55], -v[40:41], v[44:45], 1.0
	v_fmac_f64_e32 v[44:45], v[44:45], v[54:55]
	v_fma_f64 v[54:55], -v[40:41], v[44:45], 1.0
	v_fmac_f64_e32 v[44:45], v[44:45], v[54:55]
	v_mul_f64 v[54:55], v[52:53], v[44:45]
	v_fma_f64 v[40:41], -v[40:41], v[54:55], v[52:53]
	v_div_fmas_f64 v[40:41], v[40:41], v[44:45], v[54:55]
	v_div_fixup_f64 v[40:41], v[40:41], v[46:47], -v[42:43]
	v_fma_f64 v[42:43], v[40:41], v[40:41], 1.0
	v_cmp_gt_f64_e32 vcc, s[76:77], v[42:43]
	s_nop 1
	v_cndmask_b32_e32 v37, 0, v60, vcc
	v_ldexp_f64 v[42:43], v[42:43], v37
	v_rsq_f64_e32 v[44:45], v[42:43]
	v_cndmask_b32_e32 v37, 0, v61, vcc
	v_cmp_class_f64_e32 vcc, v[42:43], v7
	v_mul_f64 v[52:53], v[42:43], v[44:45]
	v_mul_f64 v[44:45], v[44:45], 0.5
	v_fma_f64 v[54:55], -v[44:45], v[52:53], 0.5
	v_fmac_f64_e32 v[52:53], v[52:53], v[54:55]
	v_fma_f64 v[56:57], -v[52:53], v[52:53], v[42:43]
	v_fmac_f64_e32 v[44:45], v[44:45], v[54:55]
	v_fmac_f64_e32 v[52:53], v[56:57], v[44:45]
	v_fma_f64 v[54:55], -v[52:53], v[52:53], v[42:43]
	v_fmac_f64_e32 v[52:53], v[54:55], v[44:45]
	v_ldexp_f64 v[44:45], v[52:53], v37
	v_cndmask_b32_e32 v43, v45, v43, vcc
	v_cndmask_b32_e32 v42, v44, v42, vcc
	v_div_scale_f64 v[44:45], s[88:89], v[42:43], v[42:43], 1.0
	v_rcp_f64_e32 v[52:53], v[44:45]
	s_nop 0
	v_fma_f64 v[54:55], -v[44:45], v[52:53], 1.0
	v_fmac_f64_e32 v[52:53], v[52:53], v[54:55]
	v_fma_f64 v[54:55], -v[44:45], v[52:53], 1.0
	v_fmac_f64_e32 v[52:53], v[52:53], v[54:55]
	v_div_scale_f64 v[54:55], vcc, 1.0, v[42:43], 1.0
	v_mul_f64 v[56:57], v[54:55], v[52:53]
	v_fma_f64 v[44:45], -v[44:45], v[56:57], v[54:55]
	s_nop 1
	v_div_fmas_f64 v[44:45], v[44:45], v[52:53], v[56:57]
	v_div_fixup_f64 v[52:53], v[44:45], v[42:43], 1.0
	v_mul_f64 v[44:45], v[40:41], v[52:53]
.LBB22_76:                              ;   in Loop: Header=BB22_55 Depth=2
	s_or_b64 exec, exec, s[78:79]
.LBB22_77:                              ;   in Loop: Header=BB22_55 Depth=2
	s_or_b64 exec, exec, s[86:87]
.LBB22_78:                              ;   in Loop: Header=BB22_55 Depth=2
	s_or_b64 exec, exec, s[84:85]
	global_load_dwordx2 v[40:41], v[48:49], off offset:-8
	v_add_f64 v[42:43], v[44:45], v[44:45]
	v_add_u32_e32 v54, -1, v2
	v_lshl_add_u64 v[56:57], v[2:3], 3, s[50:51]
	v_lshl_add_u64 v[58:59], v[56:57], 0, -8
	v_cmp_gt_i32_e32 vcc, v54, v36
	v_lshl_add_u64 v[58:59], s[34:35], 3, v[58:59]
	s_waitcnt vmcnt(0)
	v_add_f64 v[40:41], v[40:41], -v[50:51]
	v_mul_f64 v[40:41], v[52:53], v[40:41]
	v_fma_f64 v[42:43], v[46:47], v[42:43], -v[40:41]
	v_mul_f64 v[40:41], v[42:43], -v[52:53]
	v_fma_f64 v[50:51], v[42:43], -v[52:53], v[50:51]
	v_fma_f64 v[42:43], v[44:45], v[42:43], -v[46:47]
	ds_write_b64 v8, v[40:41]
	global_store_dwordx2 v[48:49], v[50:51], off
	global_store_dwordx2 v[56:57], v[44:45], off offset:-8
	global_store_dwordx2 v[58:59], v[52:53], off offset:-8
	s_and_saveexec_b64 s[84:85], vcc
	s_cbranch_execz .LBB22_95
; %bb.79:                               ;   in Loop: Header=BB22_55 Depth=2
	v_ashrrev_i32_e32 v55, 31, v54
	v_readlane_b32 s92, v65, 4
	v_readlane_b32 s94, v65, 2
	v_xor_b32_e32 v53, 0x80000000, v53
	v_lshlrev_b64 v[46:47], 3, v[54:55]
	s_mov_b32 s39, -1
	s_mov_b64 s[86:87], 0
	s_mov_b64 s[88:89], s[62:63]
	;; [unrolled: 1-line block ×3, first 2 shown]
	v_readlane_b32 s93, v65, 5
	v_readlane_b32 s95, v65, 3
	s_branch .LBB22_81
.LBB22_80:                              ;   in Loop: Header=BB22_81 Depth=3
	v_lshl_add_u64 v[50:51], s[90:91], 0, v[46:47]
	global_load_dwordx4 v[66:69], v[50:51], off offset:-8
	v_lshl_add_u64 v[58:59], s[94:95], 0, v[46:47]
	s_add_u32 s94, s94, -8
	s_addc_u32 s95, s95, -1
	v_mul_f64 v[42:43], v[44:45], v[48:49]
	v_lshl_add_u64 v[48:49], s[92:93], 0, v[46:47]
	s_add_u32 s92, s92, -8
	s_addc_u32 s93, s93, -1
	s_add_i32 s39, s39, -1
	s_add_u32 s90, s90, -8
	s_addc_u32 s91, s91, -1
	v_add_f64 v[44:45], v[54:55], v[54:55]
	v_add_u32_e32 v3, s39, v2
	s_add_u32 s88, s88, -8
	v_cmp_le_i32_e32 vcc, v3, v36
	s_addc_u32 s89, s89, -1
	v_xor_b32_e32 v53, 0x80000000, v57
	v_mov_b32_e32 v52, v56
	s_or_b64 s[86:87], vcc, s[86:87]
	s_waitcnt vmcnt(0)
	v_add_f64 v[68:69], v[68:69], -v[40:41]
	v_add_f64 v[40:41], v[66:67], -v[68:69]
	v_mul_f64 v[40:41], v[56:57], v[40:41]
	v_fma_f64 v[44:45], v[42:43], v[44:45], -v[40:41]
	v_mul_f64 v[40:41], v[44:45], -v[56:57]
	v_fma_f64 v[66:67], v[44:45], -v[56:57], v[68:69]
	v_fma_f64 v[42:43], v[54:55], v[44:45], -v[42:43]
	v_mov_b64_e32 v[44:45], v[54:55]
	global_store_dwordx2 v[50:51], v[66:67], off
	global_store_dwordx2 v[48:49], v[54:55], off
	;; [unrolled: 1-line block ×3, first 2 shown]
	s_andn2_b64 exec, exec, s[86:87]
	s_cbranch_execz .LBB22_94
.LBB22_81:                              ;   Parent Loop BB22_7 Depth=1
                                        ;     Parent Loop BB22_55 Depth=2
                                        ; =>    This Inner Loop Header: Depth=3
	v_lshl_add_u64 v[50:51], s[88:89], 0, v[46:47]
	global_load_dwordx2 v[48:49], v[50:51], off
	v_mov_b64_e32 v[56:57], 0
	v_mov_b64_e32 v[54:55], 1.0
	s_waitcnt vmcnt(0)
	v_mul_f64 v[52:53], v[52:53], v[48:49]
	v_cmp_neq_f64_e32 vcc, 0, v[52:53]
	s_and_saveexec_b64 s[96:97], vcc
	s_cbranch_execz .LBB22_91
; %bb.82:                               ;   in Loop: Header=BB22_81 Depth=3
	v_cmp_neq_f64_e32 vcc, 0, v[42:43]
	v_xor_b32_e32 v59, 0x80000000, v53
	v_mov_b32_e32 v58, v52
                                        ; implicit-def: $vgpr56_vgpr57
                                        ; implicit-def: $vgpr54_vgpr55
	s_and_saveexec_b64 s[78:79], vcc
	s_xor_b64 s[98:99], exec, s[78:79]
	s_cbranch_execz .LBB22_88
; %bb.83:                               ;   in Loop: Header=BB22_81 Depth=3
	v_cmp_ngt_f64_e64 s[78:79], |v[52:53]|, |v[42:43]|
                                        ; implicit-def: $vgpr56_vgpr57
                                        ; implicit-def: $vgpr54_vgpr55
	s_and_saveexec_b64 vcc, s[78:79]
	s_xor_b64 s[78:79], exec, vcc
	s_cbranch_execz .LBB22_85
; %bb.84:                               ;   in Loop: Header=BB22_81 Depth=3
	v_div_scale_f64 v[54:55], s[60:61], v[42:43], v[42:43], -v[52:53]
	v_rcp_f64_e32 v[56:57], v[54:55]
	v_div_scale_f64 v[58:59], vcc, -v[52:53], v[42:43], -v[52:53]
	v_fma_f64 v[66:67], -v[54:55], v[56:57], 1.0
	v_fmac_f64_e32 v[56:57], v[56:57], v[66:67]
	v_fma_f64 v[66:67], -v[54:55], v[56:57], 1.0
	v_fmac_f64_e32 v[56:57], v[56:57], v[66:67]
	v_mul_f64 v[66:67], v[58:59], v[56:57]
	v_fma_f64 v[54:55], -v[54:55], v[66:67], v[58:59]
	v_div_fmas_f64 v[54:55], v[54:55], v[56:57], v[66:67]
	v_div_fixup_f64 v[56:57], v[54:55], v[42:43], -v[52:53]
	v_fma_f64 v[54:55], v[56:57], v[56:57], 1.0
	v_cmp_gt_f64_e32 vcc, s[76:77], v[54:55]
	s_nop 1
	v_cndmask_b32_e32 v3, 0, v60, vcc
	v_ldexp_f64 v[54:55], v[54:55], v3
	v_rsq_f64_e32 v[58:59], v[54:55]
	v_cndmask_b32_e32 v3, 0, v61, vcc
	v_cmp_class_f64_e32 vcc, v[54:55], v7
	v_mul_f64 v[66:67], v[54:55], v[58:59]
	v_mul_f64 v[58:59], v[58:59], 0.5
	v_fma_f64 v[68:69], -v[58:59], v[66:67], 0.5
	v_fmac_f64_e32 v[66:67], v[66:67], v[68:69]
	v_fmac_f64_e32 v[58:59], v[58:59], v[68:69]
	v_fma_f64 v[68:69], -v[66:67], v[66:67], v[54:55]
	v_fmac_f64_e32 v[66:67], v[68:69], v[58:59]
	v_fma_f64 v[68:69], -v[66:67], v[66:67], v[54:55]
	v_fmac_f64_e32 v[66:67], v[68:69], v[58:59]
	v_ldexp_f64 v[58:59], v[66:67], v3
	v_cndmask_b32_e32 v55, v59, v55, vcc
	v_cndmask_b32_e32 v54, v58, v54, vcc
	v_div_scale_f64 v[58:59], s[60:61], v[54:55], v[54:55], 1.0
	v_rcp_f64_e32 v[66:67], v[58:59]
	s_nop 0
	v_fma_f64 v[68:69], -v[58:59], v[66:67], 1.0
	v_fmac_f64_e32 v[66:67], v[66:67], v[68:69]
	v_fma_f64 v[68:69], -v[58:59], v[66:67], 1.0
	v_fmac_f64_e32 v[66:67], v[66:67], v[68:69]
	v_div_scale_f64 v[68:69], vcc, 1.0, v[54:55], 1.0
	v_mul_f64 v[70:71], v[68:69], v[66:67]
	v_fma_f64 v[58:59], -v[58:59], v[70:71], v[68:69]
	s_nop 1
	v_div_fmas_f64 v[58:59], v[58:59], v[66:67], v[70:71]
	v_div_fixup_f64 v[54:55], v[58:59], v[54:55], 1.0
	v_mul_f64 v[56:57], v[56:57], v[54:55]
.LBB22_85:                              ;   in Loop: Header=BB22_81 Depth=3
	s_andn2_saveexec_b64 s[78:79], s[78:79]
	s_cbranch_execz .LBB22_87
; %bb.86:                               ;   in Loop: Header=BB22_81 Depth=3
	v_div_scale_f64 v[54:55], s[60:61], v[52:53], v[52:53], -v[42:43]
	v_rcp_f64_e32 v[56:57], v[54:55]
	v_div_scale_f64 v[58:59], vcc, -v[42:43], v[52:53], -v[42:43]
	v_fma_f64 v[66:67], -v[54:55], v[56:57], 1.0
	v_fmac_f64_e32 v[56:57], v[56:57], v[66:67]
	v_fma_f64 v[66:67], -v[54:55], v[56:57], 1.0
	v_fmac_f64_e32 v[56:57], v[56:57], v[66:67]
	v_mul_f64 v[66:67], v[58:59], v[56:57]
	v_fma_f64 v[54:55], -v[54:55], v[66:67], v[58:59]
	v_div_fmas_f64 v[54:55], v[54:55], v[56:57], v[66:67]
	v_div_fixup_f64 v[54:55], v[54:55], v[52:53], -v[42:43]
	v_fma_f64 v[56:57], v[54:55], v[54:55], 1.0
	v_cmp_gt_f64_e32 vcc, s[76:77], v[56:57]
	s_nop 1
	v_cndmask_b32_e32 v3, 0, v60, vcc
	v_ldexp_f64 v[56:57], v[56:57], v3
	v_rsq_f64_e32 v[58:59], v[56:57]
	v_cndmask_b32_e32 v3, 0, v61, vcc
	v_cmp_class_f64_e32 vcc, v[56:57], v7
	v_mul_f64 v[66:67], v[56:57], v[58:59]
	v_mul_f64 v[58:59], v[58:59], 0.5
	v_fma_f64 v[68:69], -v[58:59], v[66:67], 0.5
	v_fmac_f64_e32 v[66:67], v[66:67], v[68:69]
	v_fmac_f64_e32 v[58:59], v[58:59], v[68:69]
	v_fma_f64 v[68:69], -v[66:67], v[66:67], v[56:57]
	v_fmac_f64_e32 v[66:67], v[68:69], v[58:59]
	v_fma_f64 v[68:69], -v[66:67], v[66:67], v[56:57]
	v_fmac_f64_e32 v[66:67], v[68:69], v[58:59]
	v_ldexp_f64 v[58:59], v[66:67], v3
	v_cndmask_b32_e32 v57, v59, v57, vcc
	v_cndmask_b32_e32 v56, v58, v56, vcc
	v_div_scale_f64 v[58:59], s[60:61], v[56:57], v[56:57], 1.0
	v_rcp_f64_e32 v[66:67], v[58:59]
	s_nop 0
	v_fma_f64 v[68:69], -v[58:59], v[66:67], 1.0
	v_fmac_f64_e32 v[66:67], v[66:67], v[68:69]
	v_fma_f64 v[68:69], -v[58:59], v[66:67], 1.0
	v_fmac_f64_e32 v[66:67], v[66:67], v[68:69]
	v_div_scale_f64 v[68:69], vcc, 1.0, v[56:57], 1.0
	v_mul_f64 v[70:71], v[68:69], v[66:67]
	v_fma_f64 v[58:59], -v[58:59], v[70:71], v[68:69]
	s_nop 1
	v_div_fmas_f64 v[58:59], v[58:59], v[66:67], v[70:71]
	v_div_fixup_f64 v[56:57], v[58:59], v[56:57], 1.0
	v_mul_f64 v[54:55], v[54:55], v[56:57]
.LBB22_87:                              ;   in Loop: Header=BB22_81 Depth=3
	s_or_b64 exec, exec, s[78:79]
	v_mul_f64 v[52:53], v[52:53], v[56:57]
	v_fma_f64 v[58:59], v[42:43], v[54:55], -v[52:53]
.LBB22_88:                              ;   in Loop: Header=BB22_81 Depth=3
	s_andn2_saveexec_b64 s[78:79], s[98:99]
; %bb.89:                               ;   in Loop: Header=BB22_81 Depth=3
	v_mov_b64_e32 v[54:55], 0
	v_mov_b64_e32 v[56:57], 1.0
; %bb.90:                               ;   in Loop: Header=BB22_81 Depth=3
	s_or_b64 exec, exec, s[78:79]
	v_mov_b64_e32 v[42:43], v[58:59]
.LBB22_91:                              ;   in Loop: Header=BB22_81 Depth=3
	s_or_b64 exec, exec, s[96:97]
	s_cmp_eq_u32 s39, 0
	s_cbranch_scc1 .LBB22_80
; %bb.92:                               ;   in Loop: Header=BB22_81 Depth=3
	global_store_dwordx2 v[50:51], v[42:43], off offset:8
	s_branch .LBB22_80
.LBB22_93:                              ;   in Loop: Header=BB22_55 Depth=2
	ds_write2_b32 v8, v2, v36 offset0:5 offset1:7
	s_cbranch_execz .LBB22_66
	s_branch .LBB22_67
.LBB22_94:                              ;   in Loop: Header=BB22_55 Depth=2
	s_or_b64 exec, exec, s[86:87]
	s_mov_b32 s94, 0x667f3bcd
	s_mov_b32 s95, 0x3ff6a09e
	ds_write_b64 v8, v[40:41]
.LBB22_95:                              ;   in Loop: Header=BB22_55 Depth=2
	s_or_b64 exec, exec, s[84:85]
	global_load_dwordx2 v[46:47], v[38:39], off
.LBB22_96:                              ;   in Loop: Header=BB22_55 Depth=2
	s_or_b64 exec, exec, s[82:83]
	s_waitcnt vmcnt(0)
	v_add_f64 v[2:3], v[46:47], -v[40:41]
	global_store_dwordx2 v[38:39], v[2:3], off
	global_store_dwordx2 v[4:5], v[42:43], off
                                        ; implicit-def: $vgpr40_vgpr41
                                        ; implicit-def: $vgpr38_vgpr39
                                        ; implicit-def: $vgpr36
                                        ; implicit-def: $vgpr46_vgpr47
.LBB22_97:                              ;   in Loop: Header=BB22_55 Depth=2
	s_andn2_saveexec_b64 s[82:83], s[8:9]
	s_cbranch_execz .LBB22_130
; %bb.98:                               ;   in Loop: Header=BB22_55 Depth=2
	v_lshl_add_u64 v[42:43], v[40:41], 3, s[48:49]
	global_load_dwordx2 v[2:3], v[38:39], off offset:8
	global_load_dwordx2 v[50:51], v[42:43], off
                                        ; implicit-def: $vgpr52_vgpr53
	s_waitcnt vmcnt(1)
	v_add_f64 v[48:49], v[46:47], -v[2:3]
	s_waitcnt vmcnt(0)
	v_add_f64 v[44:45], v[50:51], v[50:51]
	v_cmp_ngt_f64_e64 s[8:9], |v[48:49]|, |v[44:45]|
	s_and_saveexec_b64 s[78:79], s[8:9]
	s_xor_b64 s[8:9], exec, s[78:79]
	s_cbranch_execz .LBB22_104
; %bb.99:                               ;   in Loop: Header=BB22_55 Depth=2
	v_cmp_nlt_f64_e64 s[78:79], |v[48:49]|, |v[44:45]|
                                        ; implicit-def: $vgpr52_vgpr53
	s_and_saveexec_b64 s[84:85], s[78:79]
	s_xor_b64 s[78:79], exec, s[84:85]
; %bb.100:                              ;   in Loop: Header=BB22_55 Depth=2
	v_mul_f64 v[52:53], |v[44:45]|, s[94:95]
; %bb.101:                              ;   in Loop: Header=BB22_55 Depth=2
	s_andn2_saveexec_b64 s[78:79], s[78:79]
	s_cbranch_execz .LBB22_103
; %bb.102:                              ;   in Loop: Header=BB22_55 Depth=2
	v_and_b32_e32 v5, 0x7fffffff, v49
	v_mov_b32_e32 v4, v48
	v_and_b32_e32 v53, 0x7fffffff, v45
	v_mov_b32_e32 v52, v44
	v_div_scale_f64 v[54:55], s[84:85], v[52:53], v[52:53], v[4:5]
	v_rcp_f64_e32 v[56:57], v[54:55]
	v_div_scale_f64 v[4:5], vcc, v[4:5], v[52:53], v[4:5]
	v_fma_f64 v[58:59], -v[54:55], v[56:57], 1.0
	v_fmac_f64_e32 v[56:57], v[56:57], v[58:59]
	v_fma_f64 v[58:59], -v[54:55], v[56:57], 1.0
	v_fmac_f64_e32 v[56:57], v[56:57], v[58:59]
	v_mul_f64 v[52:53], v[4:5], v[56:57]
	v_fma_f64 v[4:5], -v[54:55], v[52:53], v[4:5]
	v_div_fmas_f64 v[4:5], v[4:5], v[56:57], v[52:53]
	v_div_fixup_f64 v[4:5], v[4:5], |v[44:45]|, |v[48:49]|
	v_fma_f64 v[4:5], v[4:5], v[4:5], 1.0
	v_cmp_gt_f64_e32 vcc, s[76:77], v[4:5]
	s_nop 1
	v_cndmask_b32_e32 v37, 0, v60, vcc
	v_ldexp_f64 v[4:5], v[4:5], v37
	v_rsq_f64_e32 v[52:53], v[4:5]
	v_cndmask_b32_e32 v37, 0, v61, vcc
	v_cmp_class_f64_e32 vcc, v[4:5], v7
	v_mul_f64 v[54:55], v[4:5], v[52:53]
	v_mul_f64 v[52:53], v[52:53], 0.5
	v_fma_f64 v[56:57], -v[52:53], v[54:55], 0.5
	v_fmac_f64_e32 v[54:55], v[54:55], v[56:57]
	v_fma_f64 v[58:59], -v[54:55], v[54:55], v[4:5]
	v_fmac_f64_e32 v[52:53], v[52:53], v[56:57]
	v_fmac_f64_e32 v[54:55], v[58:59], v[52:53]
	v_fma_f64 v[56:57], -v[54:55], v[54:55], v[4:5]
	v_fmac_f64_e32 v[54:55], v[56:57], v[52:53]
	v_ldexp_f64 v[52:53], v[54:55], v37
	v_cndmask_b32_e32 v5, v53, v5, vcc
	v_cndmask_b32_e32 v4, v52, v4, vcc
	v_mul_f64 v[52:53], |v[44:45]|, v[4:5]
.LBB22_103:                             ;   in Loop: Header=BB22_55 Depth=2
	s_or_b64 exec, exec, s[78:79]
.LBB22_104:                             ;   in Loop: Header=BB22_55 Depth=2
	s_andn2_saveexec_b64 s[8:9], s[8:9]
	s_cbranch_execz .LBB22_106
; %bb.105:                              ;   in Loop: Header=BB22_55 Depth=2
	v_and_b32_e32 v5, 0x7fffffff, v45
	v_mov_b32_e32 v4, v44
	v_and_b32_e32 v53, 0x7fffffff, v49
	v_mov_b32_e32 v52, v48
	v_div_scale_f64 v[54:55], s[78:79], v[52:53], v[52:53], v[4:5]
	v_rcp_f64_e32 v[56:57], v[54:55]
	v_div_scale_f64 v[4:5], vcc, v[4:5], v[52:53], v[4:5]
	v_fma_f64 v[58:59], -v[54:55], v[56:57], 1.0
	v_fmac_f64_e32 v[56:57], v[56:57], v[58:59]
	v_fma_f64 v[58:59], -v[54:55], v[56:57], 1.0
	v_fmac_f64_e32 v[56:57], v[56:57], v[58:59]
	v_mul_f64 v[52:53], v[4:5], v[56:57]
	v_fma_f64 v[4:5], -v[54:55], v[52:53], v[4:5]
	v_div_fmas_f64 v[4:5], v[4:5], v[56:57], v[52:53]
	v_div_fixup_f64 v[4:5], v[4:5], |v[48:49]|, |v[44:45]|
	v_fma_f64 v[4:5], v[4:5], v[4:5], 1.0
	v_cmp_gt_f64_e32 vcc, s[76:77], v[4:5]
	s_nop 1
	v_cndmask_b32_e32 v37, 0, v60, vcc
	v_ldexp_f64 v[4:5], v[4:5], v37
	v_rsq_f64_e32 v[52:53], v[4:5]
	v_cndmask_b32_e32 v37, 0, v61, vcc
	v_cmp_class_f64_e32 vcc, v[4:5], v7
	v_mul_f64 v[54:55], v[4:5], v[52:53]
	v_mul_f64 v[52:53], v[52:53], 0.5
	v_fma_f64 v[56:57], -v[52:53], v[54:55], 0.5
	v_fmac_f64_e32 v[54:55], v[54:55], v[56:57]
	v_fma_f64 v[58:59], -v[54:55], v[54:55], v[4:5]
	v_fmac_f64_e32 v[52:53], v[52:53], v[56:57]
	v_fmac_f64_e32 v[54:55], v[58:59], v[52:53]
	v_fma_f64 v[56:57], -v[54:55], v[54:55], v[4:5]
	v_fmac_f64_e32 v[54:55], v[56:57], v[52:53]
	v_ldexp_f64 v[52:53], v[54:55], v37
	v_cndmask_b32_e32 v5, v53, v5, vcc
	v_cndmask_b32_e32 v4, v52, v4, vcc
	v_mul_f64 v[52:53], |v[48:49]|, v[4:5]
.LBB22_106:                             ;   in Loop: Header=BB22_55 Depth=2
	s_or_b64 exec, exec, s[8:9]
	v_add_f64 v[56:57], v[46:47], v[2:3]
	v_cmp_gt_f64_e64 vcc, |v[46:47]|, |v[2:3]|
	s_nop 1
	v_cndmask_b32_e32 v55, v47, v3, vcc
	v_cndmask_b32_e32 v54, v46, v2, vcc
	;; [unrolled: 1-line block ×4, first 2 shown]
	v_cmp_ngt_f64_e32 vcc, 0, v[56:57]
                                        ; implicit-def: $vgpr4_vgpr5
	s_and_saveexec_b64 s[8:9], vcc
	s_xor_b64 s[8:9], exec, s[8:9]
	s_cbranch_execz .LBB22_112
; %bb.107:                              ;   in Loop: Header=BB22_55 Depth=2
	v_cmp_nlt_f64_e32 vcc, 0, v[56:57]
                                        ; implicit-def: $vgpr4_vgpr5
	s_and_saveexec_b64 s[78:79], vcc
	s_xor_b64 s[78:79], exec, s[78:79]
; %bb.108:                              ;   in Loop: Header=BB22_55 Depth=2
	v_mul_f64 v[2:3], v[52:53], 0.5
	v_mul_f64 v[4:5], v[52:53], -0.5
                                        ; implicit-def: $vgpr56_vgpr57
                                        ; implicit-def: $vgpr46_vgpr47
                                        ; implicit-def: $vgpr50_vgpr51
                                        ; implicit-def: $vgpr54_vgpr55
; %bb.109:                              ;   in Loop: Header=BB22_55 Depth=2
	s_andn2_saveexec_b64 s[78:79], s[78:79]
	s_cbranch_execz .LBB22_111
; %bb.110:                              ;   in Loop: Header=BB22_55 Depth=2
	v_add_f64 v[2:3], v[56:57], v[52:53]
	v_mul_f64 v[2:3], v[2:3], 0.5
	v_div_scale_f64 v[4:5], s[84:85], v[2:3], v[2:3], v[46:47]
	v_rcp_f64_e32 v[56:57], v[4:5]
	v_div_scale_f64 v[58:59], vcc, v[46:47], v[2:3], v[46:47]
	v_fma_f64 v[66:67], -v[4:5], v[56:57], 1.0
	v_fmac_f64_e32 v[56:57], v[56:57], v[66:67]
	v_fma_f64 v[66:67], -v[4:5], v[56:57], 1.0
	v_fmac_f64_e32 v[56:57], v[56:57], v[66:67]
	v_mul_f64 v[66:67], v[58:59], v[56:57]
	v_fma_f64 v[4:5], -v[4:5], v[66:67], v[58:59]
	v_div_scale_f64 v[58:59], s[84:85], v[2:3], v[2:3], v[50:51]
	v_rcp_f64_e32 v[68:69], v[58:59]
	v_div_fmas_f64 v[4:5], v[4:5], v[56:57], v[66:67]
	v_div_fixup_f64 v[4:5], v[4:5], v[2:3], v[46:47]
	v_fma_f64 v[46:47], -v[58:59], v[68:69], 1.0
	v_fmac_f64_e32 v[68:69], v[68:69], v[46:47]
	v_fma_f64 v[46:47], -v[58:59], v[68:69], 1.0
	v_fmac_f64_e32 v[68:69], v[68:69], v[46:47]
	v_div_scale_f64 v[46:47], vcc, v[50:51], v[2:3], v[50:51]
	v_mul_f64 v[56:57], v[46:47], v[68:69]
	v_fma_f64 v[46:47], -v[58:59], v[56:57], v[46:47]
	s_nop 1
	v_div_fmas_f64 v[46:47], v[46:47], v[68:69], v[56:57]
	v_div_fixup_f64 v[46:47], v[46:47], v[2:3], v[50:51]
	v_mul_f64 v[46:47], v[50:51], v[46:47]
	v_fma_f64 v[4:5], v[54:55], v[4:5], -v[46:47]
.LBB22_111:                             ;   in Loop: Header=BB22_55 Depth=2
	s_or_b64 exec, exec, s[78:79]
                                        ; implicit-def: $vgpr56_vgpr57
                                        ; implicit-def: $vgpr46_vgpr47
                                        ; implicit-def: $vgpr50_vgpr51
                                        ; implicit-def: $vgpr54_vgpr55
.LBB22_112:                             ;   in Loop: Header=BB22_55 Depth=2
	s_or_saveexec_b64 s[8:9], s[8:9]
	v_mov_b32_e32 v37, 1
	s_xor_b64 exec, exec, s[8:9]
	s_cbranch_execz .LBB22_114
; %bb.113:                              ;   in Loop: Header=BB22_55 Depth=2
	v_add_f64 v[2:3], v[56:57], -v[52:53]
	v_mul_f64 v[2:3], v[2:3], 0.5
	v_div_scale_f64 v[4:5], s[78:79], v[2:3], v[2:3], v[46:47]
	v_rcp_f64_e32 v[56:57], v[4:5]
	v_div_scale_f64 v[58:59], vcc, v[46:47], v[2:3], v[46:47]
	v_mov_b32_e32 v37, -1
	v_fma_f64 v[66:67], -v[4:5], v[56:57], 1.0
	v_fmac_f64_e32 v[56:57], v[56:57], v[66:67]
	v_fma_f64 v[66:67], -v[4:5], v[56:57], 1.0
	v_fmac_f64_e32 v[56:57], v[56:57], v[66:67]
	v_mul_f64 v[66:67], v[58:59], v[56:57]
	v_fma_f64 v[4:5], -v[4:5], v[66:67], v[58:59]
	v_div_scale_f64 v[58:59], s[78:79], v[2:3], v[2:3], v[50:51]
	v_rcp_f64_e32 v[68:69], v[58:59]
	v_div_fmas_f64 v[4:5], v[4:5], v[56:57], v[66:67]
	v_div_fixup_f64 v[4:5], v[4:5], v[2:3], v[46:47]
	v_fma_f64 v[46:47], -v[58:59], v[68:69], 1.0
	v_fmac_f64_e32 v[68:69], v[68:69], v[46:47]
	v_fma_f64 v[46:47], -v[58:59], v[68:69], 1.0
	v_fmac_f64_e32 v[68:69], v[68:69], v[46:47]
	v_div_scale_f64 v[46:47], vcc, v[50:51], v[2:3], v[50:51]
	v_mul_f64 v[56:57], v[46:47], v[68:69]
	v_fma_f64 v[46:47], -v[58:59], v[56:57], v[46:47]
	s_nop 1
	v_div_fmas_f64 v[46:47], v[46:47], v[68:69], v[56:57]
	v_div_fixup_f64 v[46:47], v[46:47], v[2:3], v[50:51]
	v_mul_f64 v[46:47], v[50:51], v[46:47]
	v_fma_f64 v[4:5], v[54:55], v[4:5], -v[46:47]
.LBB22_114:                             ;   in Loop: Header=BB22_55 Depth=2
	s_or_b64 exec, exec, s[8:9]
	v_xor_b32_e32 v46, 0x80000000, v53
	v_cmp_nle_f64_e64 s[8:9], 0, v[48:49]
                                        ; implicit-def: $vgpr50_vgpr51
	s_nop 1
	v_cndmask_b32_e64 v53, v53, v46, s[8:9]
	v_add_f64 v[46:47], v[48:49], v[52:53]
	v_cmp_ngt_f64_e64 s[78:79], |v[46:47]|, |v[44:45]|
                                        ; implicit-def: $vgpr48_vgpr49
	s_and_saveexec_b64 s[84:85], s[78:79]
	s_xor_b64 s[84:85], exec, s[84:85]
	s_cbranch_execz .LBB22_118
; %bb.115:                              ;   in Loop: Header=BB22_55 Depth=2
	v_mov_b64_e32 v[48:49], 0
	v_cmp_neq_f64_e32 vcc, 0, v[44:45]
	v_mov_b64_e32 v[50:51], 1.0
	s_and_saveexec_b64 s[78:79], vcc
	s_cbranch_execz .LBB22_117
; %bb.116:                              ;   in Loop: Header=BB22_55 Depth=2
	v_div_scale_f64 v[48:49], s[86:87], v[44:45], v[44:45], -v[46:47]
	v_rcp_f64_e32 v[50:51], v[48:49]
	v_div_scale_f64 v[52:53], vcc, -v[46:47], v[44:45], -v[46:47]
	v_fma_f64 v[54:55], -v[48:49], v[50:51], 1.0
	v_fmac_f64_e32 v[50:51], v[50:51], v[54:55]
	v_fma_f64 v[54:55], -v[48:49], v[50:51], 1.0
	v_fmac_f64_e32 v[50:51], v[50:51], v[54:55]
	v_mul_f64 v[54:55], v[52:53], v[50:51]
	v_fma_f64 v[48:49], -v[48:49], v[54:55], v[52:53]
	v_div_fmas_f64 v[48:49], v[48:49], v[50:51], v[54:55]
	v_div_fixup_f64 v[44:45], v[48:49], v[44:45], -v[46:47]
	v_fma_f64 v[46:47], v[44:45], v[44:45], 1.0
	v_cmp_gt_f64_e32 vcc, s[76:77], v[46:47]
	s_nop 1
	v_cndmask_b32_e32 v48, 0, v60, vcc
	v_ldexp_f64 v[46:47], v[46:47], v48
	v_rsq_f64_e32 v[48:49], v[46:47]
	s_nop 0
	v_mul_f64 v[50:51], v[46:47], v[48:49]
	v_mul_f64 v[48:49], v[48:49], 0.5
	v_fma_f64 v[52:53], -v[48:49], v[50:51], 0.5
	v_fmac_f64_e32 v[50:51], v[50:51], v[52:53]
	v_fma_f64 v[54:55], -v[50:51], v[50:51], v[46:47]
	v_fmac_f64_e32 v[48:49], v[48:49], v[52:53]
	v_fmac_f64_e32 v[50:51], v[54:55], v[48:49]
	v_fma_f64 v[52:53], -v[50:51], v[50:51], v[46:47]
	v_fmac_f64_e32 v[50:51], v[52:53], v[48:49]
	v_cndmask_b32_e32 v48, 0, v61, vcc
	v_ldexp_f64 v[48:49], v[50:51], v48
	v_cmp_class_f64_e32 vcc, v[46:47], v7
	s_nop 1
	v_cndmask_b32_e32 v47, v49, v47, vcc
	v_cndmask_b32_e32 v46, v48, v46, vcc
	v_div_scale_f64 v[48:49], s[86:87], v[46:47], v[46:47], 1.0
	v_rcp_f64_e32 v[50:51], v[48:49]
	s_nop 0
	v_fma_f64 v[52:53], -v[48:49], v[50:51], 1.0
	v_fmac_f64_e32 v[50:51], v[50:51], v[52:53]
	v_fma_f64 v[52:53], -v[48:49], v[50:51], 1.0
	v_fmac_f64_e32 v[50:51], v[50:51], v[52:53]
	v_div_scale_f64 v[52:53], vcc, 1.0, v[46:47], 1.0
	v_mul_f64 v[54:55], v[52:53], v[50:51]
	v_fma_f64 v[48:49], -v[48:49], v[54:55], v[52:53]
	s_nop 1
	v_div_fmas_f64 v[48:49], v[48:49], v[50:51], v[54:55]
	v_div_fixup_f64 v[50:51], v[48:49], v[46:47], 1.0
	v_mul_f64 v[48:49], v[44:45], v[50:51]
.LBB22_117:                             ;   in Loop: Header=BB22_55 Depth=2
	s_or_b64 exec, exec, s[78:79]
                                        ; implicit-def: $vgpr46_vgpr47
                                        ; implicit-def: $vgpr44_vgpr45
.LBB22_118:                             ;   in Loop: Header=BB22_55 Depth=2
	s_andn2_saveexec_b64 s[84:85], s[84:85]
	s_cbranch_execz .LBB22_120
; %bb.119:                              ;   in Loop: Header=BB22_55 Depth=2
	v_div_scale_f64 v[48:49], s[78:79], v[46:47], v[46:47], -v[44:45]
	v_rcp_f64_e32 v[50:51], v[48:49]
	v_div_scale_f64 v[52:53], vcc, -v[44:45], v[46:47], -v[44:45]
	v_fma_f64 v[54:55], -v[48:49], v[50:51], 1.0
	v_fmac_f64_e32 v[50:51], v[50:51], v[54:55]
	v_fma_f64 v[54:55], -v[48:49], v[50:51], 1.0
	v_fmac_f64_e32 v[50:51], v[50:51], v[54:55]
	v_mul_f64 v[54:55], v[52:53], v[50:51]
	v_fma_f64 v[48:49], -v[48:49], v[54:55], v[52:53]
	v_div_fmas_f64 v[48:49], v[48:49], v[50:51], v[54:55]
	v_div_fixup_f64 v[44:45], v[48:49], v[46:47], -v[44:45]
	v_fma_f64 v[46:47], v[44:45], v[44:45], 1.0
	v_cmp_gt_f64_e32 vcc, s[76:77], v[46:47]
	s_nop 1
	v_cndmask_b32_e32 v48, 0, v60, vcc
	v_ldexp_f64 v[46:47], v[46:47], v48
	v_rsq_f64_e32 v[48:49], v[46:47]
	s_nop 0
	v_mul_f64 v[50:51], v[46:47], v[48:49]
	v_mul_f64 v[48:49], v[48:49], 0.5
	v_fma_f64 v[52:53], -v[48:49], v[50:51], 0.5
	v_fmac_f64_e32 v[50:51], v[50:51], v[52:53]
	v_fma_f64 v[54:55], -v[50:51], v[50:51], v[46:47]
	v_fmac_f64_e32 v[48:49], v[48:49], v[52:53]
	v_fmac_f64_e32 v[50:51], v[54:55], v[48:49]
	v_fma_f64 v[52:53], -v[50:51], v[50:51], v[46:47]
	v_fmac_f64_e32 v[50:51], v[52:53], v[48:49]
	v_cndmask_b32_e32 v48, 0, v61, vcc
	v_ldexp_f64 v[48:49], v[50:51], v48
	v_cmp_class_f64_e32 vcc, v[46:47], v7
	s_nop 1
	v_cndmask_b32_e32 v47, v49, v47, vcc
	v_cndmask_b32_e32 v46, v48, v46, vcc
	v_div_scale_f64 v[48:49], s[78:79], v[46:47], v[46:47], 1.0
	v_rcp_f64_e32 v[50:51], v[48:49]
	s_nop 0
	v_fma_f64 v[52:53], -v[48:49], v[50:51], 1.0
	v_fmac_f64_e32 v[50:51], v[50:51], v[52:53]
	v_fma_f64 v[52:53], -v[48:49], v[50:51], 1.0
	v_fmac_f64_e32 v[50:51], v[50:51], v[52:53]
	v_div_scale_f64 v[52:53], vcc, 1.0, v[46:47], 1.0
	v_mul_f64 v[54:55], v[52:53], v[50:51]
	v_fma_f64 v[48:49], -v[48:49], v[54:55], v[52:53]
	s_nop 1
	v_div_fmas_f64 v[48:49], v[48:49], v[50:51], v[54:55]
	v_div_fixup_f64 v[48:49], v[48:49], v[46:47], 1.0
	v_mul_f64 v[50:51], v[44:45], v[48:49]
.LBB22_120:                             ;   in Loop: Header=BB22_55 Depth=2
	s_or_b64 exec, exec, s[84:85]
	v_cndmask_b32_e64 v44, 1, -1, s[8:9]
	v_xor_b32_e32 v46, 0x80000000, v49
	v_cmp_eq_u32_e32 vcc, v37, v44
	v_lshl_add_u64 v[40:41], v[40:41], 3, s[50:51]
	s_nop 0
	v_cndmask_b32_e32 v47, v51, v46, vcc
	v_cndmask_b32_e32 v46, v50, v48, vcc
	;; [unrolled: 1-line block ×4, first 2 shown]
	global_store_dwordx2 v[40:41], v[46:47], off
	v_lshl_add_u64 v[40:41], s[34:35], 3, v[40:41]
	global_store_dwordx2 v[40:41], v[44:45], off offset:-8
	global_store_dwordx4 v[38:39], v[2:5], off
	global_store_dwordx2 v[42:43], v[8:9], off
	s_nop 0
	v_add_u32_e32 v2, 2, v36
	ds_write_b32 v8, v2 offset:16
	s_or_b64 exec, exec, s[82:83]
                                        ; implicit-def: $vgpr3
.LBB22_121:                             ;   in Loop: Header=BB22_55 Depth=2
	s_andn2_saveexec_b64 s[8:9], s[80:81]
.LBB22_122:                             ;   in Loop: Header=BB22_55 Depth=2
	ds_write_b32 v8, v3 offset:16
.LBB22_123:                             ;   in Loop: Header=BB22_55 Depth=2
	s_or_b64 exec, exec, s[8:9]
.LBB22_124:                             ;   in Loop: Header=BB22_55 Depth=2
	s_or_b64 exec, exec, s[2:3]
	s_waitcnt lgkmcnt(0)
	s_barrier
	ds_read_b64 v[2:3], v8 offset:16
	s_waitcnt lgkmcnt(0)
	v_readfirstlane_b32 s39, v3
	s_nop 1
	v_cmp_eq_u32_e32 vcc, s39, v2
	v_mov_b32_e32 v36, s39
	s_cbranch_vccnz .LBB22_54
; %bb.125:                              ;   in Loop: Header=BB22_55 Depth=2
	s_and_saveexec_b64 s[2:3], s[4:5]
	s_cbranch_execz .LBB22_53
; %bb.126:                              ;   in Loop: Header=BB22_55 Depth=2
	ds_read_b32 v2, v8 offset:28
	s_mov_b64 s[84:85], 0
	v_mov_b32_e32 v40, v6
	s_waitcnt lgkmcnt(0)
	v_readfirstlane_b32 s43, v2
	s_mul_i32 s8, s43, s15
	s_ashr_i32 s9, s8, 31
	s_lshl_b64 s[60:61], s[8:9], 4
	s_add_u32 s8, s14, s60
	s_addc_u32 s9, s0, s61
	s_sub_i32 s39, s39, s43
	s_mul_hi_i32 s79, s39, s52
	s_mul_i32 s78, s39, s52
	s_lshl_b64 s[78:79], s[78:79], 4
	s_add_u32 s80, s8, s78
	s_addc_u32 s81, s9, s79
	s_cmp_gt_i32 s39, 0
	s_cselect_b64 s[82:83], -1, 0
	s_add_i32 s74, s39, -1
	s_mul_i32 s43, s67, s74
	s_mul_hi_u32 s59, s66, s74
	v_ashrrev_i32_e32 v3, 31, v2
	s_lshl_b64 s[78:79], s[74:75], 3
	s_add_i32 s59, s59, s43
	s_mul_i32 s43, s66, s74
	v_lshlrev_b64 v[2:3], 3, v[2:3]
	s_add_u32 s60, s43, s60
	v_lshl_add_u64 v[2:3], v[2:3], 0, s[78:79]
	s_addc_u32 s61, s59, s61
	v_lshl_add_u64 v[36:37], s[50:51], 0, v[2:3]
	v_lshl_add_u64 v[38:39], v[12:13], 0, s[60:61]
	s_branch .LBB22_128
.LBB22_127:                             ;   in Loop: Header=BB22_128 Depth=3
	v_add_u32_e32 v40, s38, v40
	v_cmp_le_i32_e32 vcc, s34, v40
	s_or_b64 s[84:85], vcc, s[84:85]
	v_lshl_add_u64 v[38:39], v[38:39], 0, s[68:69]
	s_waitcnt vmcnt(0)
	global_store_dwordx4 v[42:43], v[2:5], off
	s_andn2_b64 exec, exec, s[84:85]
	s_cbranch_execz .LBB22_53
.LBB22_128:                             ;   Parent Loop BB22_7 Depth=1
                                        ;     Parent Loop BB22_55 Depth=2
                                        ; =>    This Loop Header: Depth=3
                                        ;         Child Loop BB22_129 Depth 4
	v_ashrrev_i32_e32 v41, 31, v40
	v_lshlrev_b64 v[42:43], 4, v[40:41]
	v_lshl_add_u64 v[2:3], s[80:81], 0, v[42:43]
	global_load_dwordx4 v[2:5], v[2:3], off
	v_lshl_add_u64 v[42:43], s[8:9], 0, v[42:43]
	s_andn2_b64 vcc, exec, s[82:83]
	v_mov_b64_e32 v[44:45], v[38:39]
	v_mov_b64_e32 v[46:47], v[36:37]
	s_mov_b32 s43, s39
	s_cbranch_vccnz .LBB22_127
.LBB22_129:                             ;   Parent Loop BB22_7 Depth=1
                                        ;     Parent Loop BB22_55 Depth=2
                                        ;       Parent Loop BB22_128 Depth=3
                                        ; =>      This Inner Loop Header: Depth=4
	v_lshl_add_u64 v[52:53], v[46:47], 0, s[64:65]
	global_load_dwordx4 v[48:51], v[44:45], off offset:-8
	s_nop 0
	global_load_dwordx2 v[52:53], v[52:53], off
	s_nop 0
	global_load_dwordx2 v[54:55], v[46:47], off
	s_mul_i32 s61, s43, s53
	s_mul_hi_u32 s74, s43, s52
	s_waitcnt vmcnt(3)
	v_mov_b64_e32 v[56:57], v[4:5]
	s_add_i32 s59, s43, -1
	v_mov_b64_e32 v[58:59], v[2:3]
	s_mul_i32 s60, s43, s52
	s_add_i32 s61, s74, s61
	v_lshl_add_u64 v[46:47], v[46:47], 0, -8
	v_lshl_add_u64 v[44:45], v[44:45], 0, s[70:71]
	s_mov_b32 s43, s59
	v_lshl_add_u64 v[66:67], s[60:61], 4, v[42:43]
	s_cmp_eq_u32 s59, 0
	s_waitcnt vmcnt(0)
	v_mul_f64 v[2:3], v[54:55], v[48:49]
	v_mul_f64 v[4:5], v[54:55], v[50:51]
	;; [unrolled: 1-line block ×4, first 2 shown]
	v_fmac_f64_e32 v[2:3], v[58:59], v[52:53]
	v_fmac_f64_e32 v[4:5], v[56:57], v[52:53]
	v_fma_f64 v[48:49], v[58:59], v[54:55], -v[48:49]
	v_fma_f64 v[50:51], v[56:57], v[54:55], -v[50:51]
	global_store_dwordx4 v[66:67], v[48:51], off
	s_cbranch_scc0 .LBB22_129
	s_branch .LBB22_127
.LBB22_130:                             ;   in Loop: Header=BB22_55 Depth=2
	s_or_b64 exec, exec, s[82:83]
                                        ; implicit-def: $vgpr3
	s_andn2_saveexec_b64 s[8:9], s[80:81]
	s_cbranch_execnz .LBB22_122
	s_branch .LBB22_123
.LBB22_131:                             ;   in Loop: Header=BB22_133 Depth=2
	s_or_b64 exec, exec, s[2:3]
	s_barrier
	ds_read_b32 v28, v8 offset:16
.LBB22_132:                             ;   in Loop: Header=BB22_133 Depth=2
	ds_read_b64 v[30:31], v8 offset:32
	s_waitcnt lgkmcnt(0)
	v_cmp_ge_i32_e32 vcc, v28, v30
	v_cmp_gt_i32_e64 s[2:3], s33, v31
	s_and_b64 s[2:3], vcc, s[2:3]
	s_andn2_b64 vcc, exec, s[2:3]
	s_cbranch_vccnz .LBB22_210
.LBB22_133:                             ;   Parent Loop BB22_7 Depth=1
                                        ; =>  This Loop Header: Depth=2
                                        ;       Child Loop BB22_139 Depth 3
                                        ;       Child Loop BB22_159 Depth 3
	;; [unrolled: 1-line block ×3, first 2 shown]
                                        ;         Child Loop BB22_207 Depth 4
	s_and_saveexec_b64 s[2:3], s[10:11]
	s_cbranch_execz .LBB22_202
; %bb.134:                              ;   in Loop: Header=BB22_133 Depth=2
	v_cmp_gt_i32_e32 vcc, v28, v30
	s_mov_b64 s[6:7], 0
	s_cbranch_vccnz .LBB22_136
; %bb.135:                              ;   in Loop: Header=BB22_133 Depth=2
	v_ashrrev_i32_e32 v29, 31, v28
	s_mov_b64 s[8:9], -1
	v_mov_b64_e32 v[36:37], v[28:29]
	v_mov_b32_e32 v32, v28
	s_cbranch_execz .LBB22_137
	s_branch .LBB22_142
.LBB22_136:                             ;   in Loop: Header=BB22_133 Depth=2
                                        ; implicit-def: $vgpr36_vgpr37
	s_mov_b64 s[8:9], 0
	v_mov_b32_e32 v32, v28
.LBB22_137:                             ;   in Loop: Header=BB22_133 Depth=2
	v_ashrrev_i32_e32 v29, 31, v28
	v_lshlrev_b64 v[2:3], 3, v[28:29]
	v_lshl_add_u64 v[14:15], s[48:49], 0, v[2:3]
	v_lshl_add_u64 v[2:3], s[72:73], 0, v[2:3]
	v_mov_b32_e32 v4, v28
	s_branch .LBB22_139
.LBB22_138:                             ;   in Loop: Header=BB22_139 Depth=3
	v_add_u32_e32 v4, -1, v63
	v_lshl_add_u64 v[2:3], v[2:3], 0, -8
	s_mov_b64 s[6:7], 0
	v_cmp_le_i32_e64 s[8:9], v4, v30
	s_andn2_b64 vcc, exec, s[8:9]
	v_lshl_add_u64 v[14:15], v[14:15], 0, -8
	s_cbranch_vccz .LBB22_141
.LBB22_139:                             ;   Parent Loop BB22_7 Depth=1
                                        ;     Parent Loop BB22_133 Depth=2
                                        ; =>    This Inner Loop Header: Depth=3
	global_load_dwordx2 v[20:21], v[14:15], off offset:-8
	global_load_dwordx4 v[32:35], v[2:3], off
	v_mov_b32_e32 v63, v4
	s_waitcnt vmcnt(1)
	v_mul_f64 v[4:5], v[20:21], v[20:21]
	s_waitcnt vmcnt(0)
	v_mul_f64 v[20:21], v[34:35], v[32:33]
	v_mul_f64 v[20:21], v[10:11], |v[20:21]|
	v_cmp_le_f64_e64 s[6:7], |v[4:5]|, v[20:21]
	s_and_b64 vcc, exec, s[6:7]
	s_cbranch_vccz .LBB22_138
; %bb.140:                              ;   in Loop: Header=BB22_133 Depth=2
	s_mov_b64 s[6:7], -1
                                        ; implicit-def: $vgpr4
                                        ; implicit-def: $vgpr2_vgpr3
	v_lshl_add_u64 v[14:15], v[14:15], 0, -8
.LBB22_141:                             ;   in Loop: Header=BB22_133 Depth=2
	s_xor_b64 s[8:9], s[6:7], -1
	s_mov_b64 s[6:7], -1
	v_mov_b64_e32 v[20:21], v[28:29]
	v_mov_b32_e32 v32, v30
	v_mov_b64_e32 v[36:37], v[28:29]
.LBB22_142:                             ;   in Loop: Header=BB22_133 Depth=2
	s_and_b64 vcc, exec, s[8:9]
	s_cbranch_vccnz .LBB22_171
; %bb.143:                              ;   in Loop: Header=BB22_133 Depth=2
	s_andn2_b64 vcc, exec, s[6:7]
	s_cbranch_vccnz .LBB22_145
.LBB22_144:                             ;   in Loop: Header=BB22_133 Depth=2
	v_mov_b64_e32 v[36:37], v[20:21]
	v_mov_b32_e32 v32, v63
	ds_write2_b32 v8, v63, v28 offset0:5 offset1:7
	global_store_dwordx2 v[14:15], v[8:9], off
.LBB22_145:                             ;   in Loop: Header=BB22_133 Depth=2
	v_lshl_add_u64 v[34:35], v[36:37], 3, s[22:23]
	global_load_dwordx2 v[38:39], v[34:35], off
	v_cmp_ne_u32_e32 vcc, v32, v28
	v_add_u32_e32 v2, -1, v28
	s_waitcnt vmcnt(0)
	ds_write_b64 v8, v[38:39]
	s_and_saveexec_b64 s[6:7], vcc
	s_xor_b64 s[8:9], exec, s[6:7]
	s_cbranch_execz .LBB22_199
; %bb.146:                              ;   in Loop: Header=BB22_133 Depth=2
	v_cmp_ne_u32_e32 vcc, v32, v2
	s_and_saveexec_b64 s[6:7], vcc
	s_xor_b64 s[6:7], exec, s[6:7]
	s_cbranch_execz .LBB22_175
; %bb.147:                              ;   in Loop: Header=BB22_133 Depth=2
	v_lshl_add_u64 v[2:3], v[36:37], 3, s[48:49]
	global_load_dwordx2 v[4:5], v[34:35], off offset:-8
	global_load_dwordx2 v[36:37], v[2:3], off offset:-8
	v_ashrrev_i32_e32 v33, 31, v32
	v_lshl_add_u64 v[40:41], v[32:33], 3, s[22:23]
	global_load_dwordx2 v[42:43], v[40:41], off
	v_add_u32_e32 v29, 1, v31
	ds_write_b64 v8, v[8:9]
	ds_write_b32 v8, v29 offset:36
	s_waitcnt vmcnt(2)
	v_add_f64 v[30:31], v[4:5], -v[38:39]
	s_waitcnt vmcnt(1)
	v_add_f64 v[44:45], v[36:37], v[36:37]
	v_div_scale_f64 v[46:47], s[60:61], v[44:45], v[44:45], v[30:31]
	v_rcp_f64_e32 v[48:49], v[46:47]
	v_div_scale_f64 v[50:51], vcc, v[30:31], v[44:45], v[30:31]
	v_mov_b64_e32 v[4:5], 0
	v_fma_f64 v[52:53], -v[46:47], v[48:49], 1.0
	v_fmac_f64_e32 v[48:49], v[48:49], v[52:53]
	v_fma_f64 v[52:53], -v[46:47], v[48:49], 1.0
	v_fmac_f64_e32 v[48:49], v[48:49], v[52:53]
	v_mul_f64 v[52:53], v[50:51], v[48:49]
	v_fma_f64 v[46:47], -v[46:47], v[52:53], v[50:51]
	v_div_fmas_f64 v[46:47], v[46:47], v[48:49], v[52:53]
	v_div_fixup_f64 v[30:31], v[46:47], v[44:45], v[30:31]
	v_fma_f64 v[44:45], v[30:31], v[30:31], 1.0
	v_cmp_gt_f64_e32 vcc, s[76:77], v[44:45]
	s_nop 1
	v_cndmask_b32_e32 v46, 0, v60, vcc
	v_ldexp_f64 v[44:45], v[44:45], v46
	v_rsq_f64_e32 v[46:47], v[44:45]
	v_cndmask_b32_e32 v29, 0, v61, vcc
	v_cmp_class_f64_e32 vcc, v[44:45], v7
	v_mul_f64 v[48:49], v[44:45], v[46:47]
	v_mul_f64 v[46:47], v[46:47], 0.5
	v_fma_f64 v[50:51], -v[46:47], v[48:49], 0.5
	v_fmac_f64_e32 v[48:49], v[48:49], v[50:51]
	v_fmac_f64_e32 v[46:47], v[46:47], v[50:51]
	v_fma_f64 v[50:51], -v[48:49], v[48:49], v[44:45]
	v_fmac_f64_e32 v[48:49], v[50:51], v[46:47]
	v_fma_f64 v[50:51], -v[48:49], v[48:49], v[44:45]
	v_fmac_f64_e32 v[48:49], v[50:51], v[46:47]
	v_ldexp_f64 v[46:47], v[48:49], v29
	v_cndmask_b32_e32 v29, v47, v45, vcc
	v_cndmask_b32_e32 v44, v46, v44, vcc
	v_and_b32_e32 v45, 0x7fffffff, v29
	v_or_b32_e32 v29, 0x80000000, v29
	v_cmp_nle_f64_e32 vcc, 0, v[30:31]
	s_waitcnt vmcnt(0)
	v_add_f64 v[48:49], v[42:43], -v[38:39]
	v_cndmask_b32_e32 v45, v45, v29, vcc
	v_add_f64 v[30:31], v[30:31], v[44:45]
	v_div_scale_f64 v[44:45], s[60:61], v[30:31], v[30:31], v[36:37]
	v_rcp_f64_e32 v[46:47], v[44:45]
	v_div_scale_f64 v[50:51], vcc, v[36:37], v[30:31], v[36:37]
	v_fma_f64 v[52:53], -v[44:45], v[46:47], 1.0
	v_fmac_f64_e32 v[46:47], v[46:47], v[52:53]
	v_fma_f64 v[52:53], -v[44:45], v[46:47], 1.0
	v_fmac_f64_e32 v[46:47], v[46:47], v[52:53]
	v_mul_f64 v[52:53], v[50:51], v[46:47]
	v_fma_f64 v[44:45], -v[44:45], v[52:53], v[50:51]
	v_div_fmas_f64 v[44:45], v[44:45], v[46:47], v[52:53]
	v_div_fixup_f64 v[30:31], v[44:45], v[30:31], v[36:37]
	v_add_f64 v[30:31], v[48:49], v[30:31]
	v_cmp_lt_i32_e32 vcc, v32, v28
	s_and_saveexec_b64 s[80:81], vcc
	s_cbranch_execz .LBB22_174
; %bb.148:                              ;   in Loop: Header=BB22_133 Depth=2
	v_lshl_add_u64 v[4:5], v[32:33], 3, s[48:49]
	global_load_dwordx2 v[38:39], v[4:5], off
	v_mov_b64_e32 v[44:45], 0
	v_mov_b64_e32 v[36:37], 1.0
	s_waitcnt vmcnt(0)
	v_cmp_neq_f64_e32 vcc, 0, v[38:39]
	s_and_saveexec_b64 s[82:83], vcc
	s_cbranch_execz .LBB22_156
; %bb.149:                              ;   in Loop: Header=BB22_133 Depth=2
	v_mov_b64_e32 v[36:37], 0
	v_cmp_neq_f64_e32 vcc, 0, v[30:31]
	v_mov_b64_e32 v[44:45], 1.0
	s_and_saveexec_b64 s[84:85], vcc
	s_cbranch_execz .LBB22_155
; %bb.150:                              ;   in Loop: Header=BB22_133 Depth=2
	v_cmp_ngt_f64_e64 s[60:61], |v[38:39]|, |v[30:31]|
                                        ; implicit-def: $vgpr44_vgpr45
                                        ; implicit-def: $vgpr36_vgpr37
	s_and_saveexec_b64 s[78:79], s[60:61]
	s_xor_b64 s[78:79], exec, s[78:79]
	s_cbranch_execz .LBB22_152
; %bb.151:                              ;   in Loop: Header=BB22_133 Depth=2
	v_div_scale_f64 v[4:5], s[60:61], v[30:31], v[30:31], -v[38:39]
	v_rcp_f64_e32 v[36:37], v[4:5]
	v_div_scale_f64 v[44:45], vcc, -v[38:39], v[30:31], -v[38:39]
	v_fma_f64 v[46:47], -v[4:5], v[36:37], 1.0
	v_fmac_f64_e32 v[36:37], v[36:37], v[46:47]
	v_fma_f64 v[46:47], -v[4:5], v[36:37], 1.0
	v_fmac_f64_e32 v[36:37], v[36:37], v[46:47]
	v_mul_f64 v[46:47], v[44:45], v[36:37]
	v_fma_f64 v[4:5], -v[4:5], v[46:47], v[44:45]
	v_div_fmas_f64 v[4:5], v[4:5], v[36:37], v[46:47]
	v_div_fixup_f64 v[4:5], v[4:5], v[30:31], -v[38:39]
	v_fma_f64 v[30:31], v[4:5], v[4:5], 1.0
	v_cmp_gt_f64_e32 vcc, s[76:77], v[30:31]
	s_nop 1
	v_cndmask_b32_e32 v29, 0, v60, vcc
	v_ldexp_f64 v[30:31], v[30:31], v29
	v_rsq_f64_e32 v[36:37], v[30:31]
	v_cndmask_b32_e32 v29, 0, v61, vcc
	v_cmp_class_f64_e32 vcc, v[30:31], v7
	v_mul_f64 v[44:45], v[30:31], v[36:37]
	v_mul_f64 v[36:37], v[36:37], 0.5
	v_fma_f64 v[46:47], -v[36:37], v[44:45], 0.5
	v_fmac_f64_e32 v[44:45], v[44:45], v[46:47]
	v_fma_f64 v[48:49], -v[44:45], v[44:45], v[30:31]
	v_fmac_f64_e32 v[36:37], v[36:37], v[46:47]
	v_fmac_f64_e32 v[44:45], v[48:49], v[36:37]
	v_fma_f64 v[46:47], -v[44:45], v[44:45], v[30:31]
	v_fmac_f64_e32 v[44:45], v[46:47], v[36:37]
	v_ldexp_f64 v[36:37], v[44:45], v29
	v_cndmask_b32_e32 v31, v37, v31, vcc
	v_cndmask_b32_e32 v30, v36, v30, vcc
	v_div_scale_f64 v[36:37], s[60:61], v[30:31], v[30:31], 1.0
	v_rcp_f64_e32 v[44:45], v[36:37]
	s_nop 0
	v_fma_f64 v[46:47], -v[36:37], v[44:45], 1.0
	v_fmac_f64_e32 v[44:45], v[44:45], v[46:47]
	v_fma_f64 v[46:47], -v[36:37], v[44:45], 1.0
	v_fmac_f64_e32 v[44:45], v[44:45], v[46:47]
	v_div_scale_f64 v[46:47], vcc, 1.0, v[30:31], 1.0
	v_mul_f64 v[48:49], v[46:47], v[44:45]
	v_fma_f64 v[36:37], -v[36:37], v[48:49], v[46:47]
	s_nop 1
	v_div_fmas_f64 v[36:37], v[36:37], v[44:45], v[48:49]
	v_div_fixup_f64 v[36:37], v[36:37], v[30:31], 1.0
	v_mul_f64 v[44:45], v[4:5], v[36:37]
                                        ; implicit-def: $vgpr30_vgpr31
.LBB22_152:                             ;   in Loop: Header=BB22_133 Depth=2
	s_andn2_saveexec_b64 s[78:79], s[78:79]
	s_cbranch_execz .LBB22_154
; %bb.153:                              ;   in Loop: Header=BB22_133 Depth=2
	v_div_scale_f64 v[4:5], s[60:61], v[38:39], v[38:39], -v[30:31]
	v_rcp_f64_e32 v[36:37], v[4:5]
	v_div_scale_f64 v[44:45], vcc, -v[30:31], v[38:39], -v[30:31]
	v_fma_f64 v[46:47], -v[4:5], v[36:37], 1.0
	v_fmac_f64_e32 v[36:37], v[36:37], v[46:47]
	v_fma_f64 v[46:47], -v[4:5], v[36:37], 1.0
	v_fmac_f64_e32 v[36:37], v[36:37], v[46:47]
	v_mul_f64 v[46:47], v[44:45], v[36:37]
	v_fma_f64 v[4:5], -v[4:5], v[46:47], v[44:45]
	v_div_fmas_f64 v[4:5], v[4:5], v[36:37], v[46:47]
	v_div_fixup_f64 v[4:5], v[4:5], v[38:39], -v[30:31]
	v_fma_f64 v[30:31], v[4:5], v[4:5], 1.0
	v_cmp_gt_f64_e32 vcc, s[76:77], v[30:31]
	s_nop 1
	v_cndmask_b32_e32 v29, 0, v60, vcc
	v_ldexp_f64 v[30:31], v[30:31], v29
	v_rsq_f64_e32 v[36:37], v[30:31]
	v_cndmask_b32_e32 v29, 0, v61, vcc
	v_cmp_class_f64_e32 vcc, v[30:31], v7
	v_mul_f64 v[44:45], v[30:31], v[36:37]
	v_mul_f64 v[36:37], v[36:37], 0.5
	v_fma_f64 v[46:47], -v[36:37], v[44:45], 0.5
	v_fmac_f64_e32 v[44:45], v[44:45], v[46:47]
	v_fma_f64 v[48:49], -v[44:45], v[44:45], v[30:31]
	v_fmac_f64_e32 v[36:37], v[36:37], v[46:47]
	v_fmac_f64_e32 v[44:45], v[48:49], v[36:37]
	v_fma_f64 v[46:47], -v[44:45], v[44:45], v[30:31]
	v_fmac_f64_e32 v[44:45], v[46:47], v[36:37]
	v_ldexp_f64 v[36:37], v[44:45], v29
	v_cndmask_b32_e32 v31, v37, v31, vcc
	v_cndmask_b32_e32 v30, v36, v30, vcc
	v_div_scale_f64 v[36:37], s[60:61], v[30:31], v[30:31], 1.0
	v_rcp_f64_e32 v[44:45], v[36:37]
	s_nop 0
	v_fma_f64 v[46:47], -v[36:37], v[44:45], 1.0
	v_fmac_f64_e32 v[44:45], v[44:45], v[46:47]
	v_fma_f64 v[46:47], -v[36:37], v[44:45], 1.0
	v_fmac_f64_e32 v[44:45], v[44:45], v[46:47]
	v_div_scale_f64 v[46:47], vcc, 1.0, v[30:31], 1.0
	v_mul_f64 v[48:49], v[46:47], v[44:45]
	v_fma_f64 v[36:37], -v[36:37], v[48:49], v[46:47]
	s_nop 1
	v_div_fmas_f64 v[36:37], v[36:37], v[44:45], v[48:49]
	v_div_fixup_f64 v[44:45], v[36:37], v[30:31], 1.0
	v_mul_f64 v[36:37], v[4:5], v[44:45]
.LBB22_154:                             ;   in Loop: Header=BB22_133 Depth=2
	s_or_b64 exec, exec, s[78:79]
.LBB22_155:                             ;   in Loop: Header=BB22_133 Depth=2
	s_or_b64 exec, exec, s[84:85]
.LBB22_156:                             ;   in Loop: Header=BB22_133 Depth=2
	s_or_b64 exec, exec, s[82:83]
	global_load_dwordx2 v[4:5], v[40:41], off offset:8
	v_add_f64 v[30:31], v[36:37], v[36:37]
	v_add_u32_e32 v48, 1, v32
	v_xor_b32_e32 v47, 0x80000000, v45
	v_mov_b32_e32 v46, v44
	v_lshl_add_u64 v[50:51], v[32:33], 3, s[50:51]
	v_cmp_lt_i32_e32 vcc, v48, v28
	v_lshl_add_u64 v[52:53], s[34:35], 3, v[50:51]
	s_waitcnt vmcnt(0)
	v_add_f64 v[4:5], v[4:5], -v[42:43]
	v_mul_f64 v[4:5], v[44:45], v[4:5]
	v_fma_f64 v[30:31], v[38:39], v[30:31], -v[4:5]
	v_mul_f64 v[4:5], v[30:31], -v[44:45]
	v_fma_f64 v[42:43], v[30:31], -v[44:45], v[42:43]
	v_fma_f64 v[30:31], v[36:37], v[30:31], -v[38:39]
	ds_write_b64 v8, v[4:5]
	global_store_dwordx2 v[40:41], v[42:43], off
	global_store_dwordx2 v[50:51], v[36:37], off
	global_store_dwordx2 v[52:53], v[46:47], off offset:-8
	s_and_saveexec_b64 s[82:83], vcc
	s_cbranch_execz .LBB22_173
; %bb.157:                              ;   in Loop: Header=BB22_133 Depth=2
	v_ashrrev_i32_e32 v49, 31, v48
	v_lshlrev_b64 v[42:43], 3, v[48:49]
	v_lshl_add_u64 v[38:39], s[50:51], 0, v[42:43]
	v_lshl_add_u64 v[40:41], s[62:63], 0, v[42:43]
	;; [unrolled: 1-line block ×3, first 2 shown]
	s_mov_b32 s39, 1
	s_mov_b64 s[84:85], 0
	s_branch .LBB22_159
.LBB22_158:                             ;   in Loop: Header=BB22_159 Depth=3
	global_load_dwordx4 v[52:55], v[42:43], off
	v_mul_f64 v[30:31], v[36:37], v[44:45]
	v_add_f64 v[44:45], v[48:49], v[48:49]
	s_add_i32 s39, s39, 1
	v_add_u32_e32 v29, s39, v32
	v_xor_b32_e32 v47, 0x80000000, v51
	v_mov_b32_e32 v46, v50
	v_lshl_add_u64 v[36:37], v[42:43], 0, 8
	v_cmp_ge_i32_e32 vcc, v29, v28
	v_lshl_add_u64 v[40:41], v[40:41], 0, 8
	v_lshl_add_u64 v[56:57], v[38:39], 0, s[64:65]
	s_or_b64 s[84:85], vcc, s[84:85]
	s_waitcnt vmcnt(0)
	v_add_f64 v[52:53], v[52:53], -v[4:5]
	v_add_f64 v[4:5], v[54:55], -v[52:53]
	v_mul_f64 v[4:5], v[50:51], v[4:5]
	v_fma_f64 v[44:45], v[30:31], v[44:45], -v[4:5]
	v_mul_f64 v[4:5], v[44:45], -v[50:51]
	v_fma_f64 v[50:51], v[44:45], -v[50:51], v[52:53]
	v_fma_f64 v[30:31], v[48:49], v[44:45], -v[30:31]
	global_store_dwordx2 v[42:43], v[50:51], off
	global_store_dwordx2 v[38:39], v[48:49], off
	;; [unrolled: 1-line block ×3, first 2 shown]
	v_lshl_add_u64 v[38:39], v[38:39], 0, 8
	v_mov_b64_e32 v[42:43], v[36:37]
	v_mov_b64_e32 v[36:37], v[48:49]
	s_andn2_b64 exec, exec, s[84:85]
	s_cbranch_execz .LBB22_172
.LBB22_159:                             ;   Parent Loop BB22_7 Depth=1
                                        ;     Parent Loop BB22_133 Depth=2
                                        ; =>    This Inner Loop Header: Depth=3
	global_load_dwordx2 v[44:45], v[40:41], off offset:8
	v_mov_b64_e32 v[50:51], 0
	v_mov_b64_e32 v[48:49], 1.0
	s_waitcnt vmcnt(0)
	v_mul_f64 v[46:47], v[46:47], v[44:45]
	v_cmp_neq_f64_e32 vcc, 0, v[46:47]
	s_and_saveexec_b64 s[86:87], vcc
	s_cbranch_execz .LBB22_169
; %bb.160:                              ;   in Loop: Header=BB22_159 Depth=3
	v_cmp_neq_f64_e32 vcc, 0, v[30:31]
	v_xor_b32_e32 v53, 0x80000000, v47
	v_mov_b32_e32 v52, v46
                                        ; implicit-def: $vgpr50_vgpr51
                                        ; implicit-def: $vgpr48_vgpr49
	s_and_saveexec_b64 s[60:61], vcc
	s_xor_b64 s[88:89], exec, s[60:61]
	s_cbranch_execz .LBB22_166
; %bb.161:                              ;   in Loop: Header=BB22_159 Depth=3
	v_cmp_ngt_f64_e64 s[60:61], |v[46:47]|, |v[30:31]|
                                        ; implicit-def: $vgpr50_vgpr51
                                        ; implicit-def: $vgpr48_vgpr49
	s_and_saveexec_b64 s[78:79], s[60:61]
	s_xor_b64 s[78:79], exec, s[78:79]
	s_cbranch_execz .LBB22_163
; %bb.162:                              ;   in Loop: Header=BB22_159 Depth=3
	v_div_scale_f64 v[48:49], s[60:61], v[30:31], v[30:31], -v[46:47]
	v_rcp_f64_e32 v[50:51], v[48:49]
	v_div_scale_f64 v[52:53], vcc, -v[46:47], v[30:31], -v[46:47]
	v_fma_f64 v[54:55], -v[48:49], v[50:51], 1.0
	v_fmac_f64_e32 v[50:51], v[50:51], v[54:55]
	v_fma_f64 v[54:55], -v[48:49], v[50:51], 1.0
	v_fmac_f64_e32 v[50:51], v[50:51], v[54:55]
	v_mul_f64 v[54:55], v[52:53], v[50:51]
	v_fma_f64 v[48:49], -v[48:49], v[54:55], v[52:53]
	v_div_fmas_f64 v[48:49], v[48:49], v[50:51], v[54:55]
	v_div_fixup_f64 v[50:51], v[48:49], v[30:31], -v[46:47]
	v_fma_f64 v[48:49], v[50:51], v[50:51], 1.0
	v_cmp_gt_f64_e32 vcc, s[76:77], v[48:49]
	s_nop 1
	v_cndmask_b32_e32 v29, 0, v60, vcc
	v_ldexp_f64 v[48:49], v[48:49], v29
	v_rsq_f64_e32 v[52:53], v[48:49]
	v_cndmask_b32_e32 v29, 0, v61, vcc
	v_cmp_class_f64_e32 vcc, v[48:49], v7
	v_mul_f64 v[54:55], v[48:49], v[52:53]
	v_mul_f64 v[52:53], v[52:53], 0.5
	v_fma_f64 v[56:57], -v[52:53], v[54:55], 0.5
	v_fmac_f64_e32 v[54:55], v[54:55], v[56:57]
	v_fma_f64 v[58:59], -v[54:55], v[54:55], v[48:49]
	v_fmac_f64_e32 v[52:53], v[52:53], v[56:57]
	v_fmac_f64_e32 v[54:55], v[58:59], v[52:53]
	v_fma_f64 v[56:57], -v[54:55], v[54:55], v[48:49]
	v_fmac_f64_e32 v[54:55], v[56:57], v[52:53]
	v_ldexp_f64 v[52:53], v[54:55], v29
	v_cndmask_b32_e32 v49, v53, v49, vcc
	v_cndmask_b32_e32 v48, v52, v48, vcc
	v_div_scale_f64 v[52:53], s[60:61], v[48:49], v[48:49], 1.0
	v_rcp_f64_e32 v[54:55], v[52:53]
	s_nop 0
	v_fma_f64 v[56:57], -v[52:53], v[54:55], 1.0
	v_fmac_f64_e32 v[54:55], v[54:55], v[56:57]
	v_fma_f64 v[56:57], -v[52:53], v[54:55], 1.0
	v_fmac_f64_e32 v[54:55], v[54:55], v[56:57]
	v_div_scale_f64 v[56:57], vcc, 1.0, v[48:49], 1.0
	v_mul_f64 v[58:59], v[56:57], v[54:55]
	v_fma_f64 v[52:53], -v[52:53], v[58:59], v[56:57]
	s_nop 1
	v_div_fmas_f64 v[52:53], v[52:53], v[54:55], v[58:59]
	v_div_fixup_f64 v[48:49], v[52:53], v[48:49], 1.0
	v_mul_f64 v[50:51], v[50:51], v[48:49]
.LBB22_163:                             ;   in Loop: Header=BB22_159 Depth=3
	s_andn2_saveexec_b64 s[78:79], s[78:79]
	s_cbranch_execz .LBB22_165
; %bb.164:                              ;   in Loop: Header=BB22_159 Depth=3
	v_div_scale_f64 v[48:49], s[60:61], v[46:47], v[46:47], -v[30:31]
	v_rcp_f64_e32 v[50:51], v[48:49]
	v_div_scale_f64 v[52:53], vcc, -v[30:31], v[46:47], -v[30:31]
	v_fma_f64 v[54:55], -v[48:49], v[50:51], 1.0
	v_fmac_f64_e32 v[50:51], v[50:51], v[54:55]
	v_fma_f64 v[54:55], -v[48:49], v[50:51], 1.0
	v_fmac_f64_e32 v[50:51], v[50:51], v[54:55]
	v_mul_f64 v[54:55], v[52:53], v[50:51]
	v_fma_f64 v[48:49], -v[48:49], v[54:55], v[52:53]
	v_div_fmas_f64 v[48:49], v[48:49], v[50:51], v[54:55]
	v_div_fixup_f64 v[48:49], v[48:49], v[46:47], -v[30:31]
	v_fma_f64 v[50:51], v[48:49], v[48:49], 1.0
	v_cmp_gt_f64_e32 vcc, s[76:77], v[50:51]
	s_nop 1
	v_cndmask_b32_e32 v29, 0, v60, vcc
	v_ldexp_f64 v[50:51], v[50:51], v29
	v_rsq_f64_e32 v[52:53], v[50:51]
	v_cndmask_b32_e32 v29, 0, v61, vcc
	v_cmp_class_f64_e32 vcc, v[50:51], v7
	v_mul_f64 v[54:55], v[50:51], v[52:53]
	v_mul_f64 v[52:53], v[52:53], 0.5
	v_fma_f64 v[56:57], -v[52:53], v[54:55], 0.5
	v_fmac_f64_e32 v[54:55], v[54:55], v[56:57]
	v_fma_f64 v[58:59], -v[54:55], v[54:55], v[50:51]
	v_fmac_f64_e32 v[52:53], v[52:53], v[56:57]
	v_fmac_f64_e32 v[54:55], v[58:59], v[52:53]
	v_fma_f64 v[56:57], -v[54:55], v[54:55], v[50:51]
	v_fmac_f64_e32 v[54:55], v[56:57], v[52:53]
	v_ldexp_f64 v[52:53], v[54:55], v29
	v_cndmask_b32_e32 v51, v53, v51, vcc
	v_cndmask_b32_e32 v50, v52, v50, vcc
	v_div_scale_f64 v[52:53], s[60:61], v[50:51], v[50:51], 1.0
	v_rcp_f64_e32 v[54:55], v[52:53]
	s_nop 0
	v_fma_f64 v[56:57], -v[52:53], v[54:55], 1.0
	v_fmac_f64_e32 v[54:55], v[54:55], v[56:57]
	v_fma_f64 v[56:57], -v[52:53], v[54:55], 1.0
	v_fmac_f64_e32 v[54:55], v[54:55], v[56:57]
	v_div_scale_f64 v[56:57], vcc, 1.0, v[50:51], 1.0
	v_mul_f64 v[58:59], v[56:57], v[54:55]
	v_fma_f64 v[52:53], -v[52:53], v[58:59], v[56:57]
	s_nop 1
	v_div_fmas_f64 v[52:53], v[52:53], v[54:55], v[58:59]
	v_div_fixup_f64 v[50:51], v[52:53], v[50:51], 1.0
	v_mul_f64 v[48:49], v[48:49], v[50:51]
.LBB22_165:                             ;   in Loop: Header=BB22_159 Depth=3
	s_or_b64 exec, exec, s[78:79]
	v_mul_f64 v[46:47], v[46:47], v[50:51]
	v_fma_f64 v[52:53], v[30:31], v[48:49], -v[46:47]
.LBB22_166:                             ;   in Loop: Header=BB22_159 Depth=3
	s_andn2_saveexec_b64 s[78:79], s[88:89]
; %bb.167:                              ;   in Loop: Header=BB22_159 Depth=3
	v_mov_b64_e32 v[48:49], 0
	v_mov_b64_e32 v[50:51], 1.0
; %bb.168:                              ;   in Loop: Header=BB22_159 Depth=3
	s_or_b64 exec, exec, s[78:79]
	v_mov_b64_e32 v[30:31], v[52:53]
.LBB22_169:                             ;   in Loop: Header=BB22_159 Depth=3
	s_or_b64 exec, exec, s[86:87]
	s_cmp_eq_u32 s39, 0
	s_cbranch_scc1 .LBB22_158
; %bb.170:                              ;   in Loop: Header=BB22_159 Depth=3
	global_store_dwordx2 v[40:41], v[30:31], off
	s_branch .LBB22_158
.LBB22_171:                             ;   in Loop: Header=BB22_133 Depth=2
	ds_write2_b32 v8, v32, v28 offset0:5 offset1:7
	s_cbranch_execz .LBB22_144
	s_branch .LBB22_145
.LBB22_172:                             ;   in Loop: Header=BB22_133 Depth=2
	s_or_b64 exec, exec, s[84:85]
	ds_write_b64 v8, v[4:5]
.LBB22_173:                             ;   in Loop: Header=BB22_133 Depth=2
	s_or_b64 exec, exec, s[82:83]
	global_load_dwordx2 v[38:39], v[34:35], off
.LBB22_174:                             ;   in Loop: Header=BB22_133 Depth=2
	s_or_b64 exec, exec, s[80:81]
	s_waitcnt vmcnt(0)
	v_add_f64 v[4:5], v[38:39], -v[4:5]
	global_store_dwordx2 v[34:35], v[4:5], off
	global_store_dwordx2 v[2:3], v[30:31], off offset:-8
                                        ; implicit-def: $vgpr34_vgpr35
                                        ; implicit-def: $vgpr36_vgpr37
                                        ; implicit-def: $vgpr28
                                        ; implicit-def: $vgpr38_vgpr39
                                        ; implicit-def: $vgpr32
.LBB22_175:                             ;   in Loop: Header=BB22_133 Depth=2
	s_andn2_saveexec_b64 s[80:81], s[6:7]
	s_cbranch_execz .LBB22_208
; %bb.176:                              ;   in Loop: Header=BB22_133 Depth=2
	v_ashrrev_i32_e32 v33, 31, v32
	v_lshlrev_b64 v[2:3], 3, v[32:33]
	v_lshl_add_u64 v[4:5], s[22:23], 0, v[2:3]
	v_lshl_add_u64 v[30:31], s[48:49], 0, v[2:3]
	global_load_dwordx2 v[2:3], v[4:5], off
	global_load_dwordx2 v[42:43], v[30:31], off
                                        ; implicit-def: $vgpr44_vgpr45
	s_waitcnt vmcnt(1)
	v_add_f64 v[40:41], v[2:3], -v[38:39]
	s_waitcnt vmcnt(0)
	v_add_f64 v[30:31], v[42:43], v[42:43]
	v_cmp_ngt_f64_e64 s[6:7], |v[40:41]|, |v[30:31]|
	s_and_saveexec_b64 s[60:61], s[6:7]
	s_xor_b64 s[6:7], exec, s[60:61]
	s_cbranch_execz .LBB22_182
; %bb.177:                              ;   in Loop: Header=BB22_133 Depth=2
	v_cmp_nlt_f64_e64 s[60:61], |v[40:41]|, |v[30:31]|
                                        ; implicit-def: $vgpr44_vgpr45
	s_and_saveexec_b64 s[78:79], s[60:61]
	s_xor_b64 s[78:79], exec, s[78:79]
; %bb.178:                              ;   in Loop: Header=BB22_133 Depth=2
	v_mul_f64 v[44:45], |v[30:31]|, s[94:95]
; %bb.179:                              ;   in Loop: Header=BB22_133 Depth=2
	s_andn2_saveexec_b64 s[78:79], s[78:79]
	s_cbranch_execz .LBB22_181
; %bb.180:                              ;   in Loop: Header=BB22_133 Depth=2
	v_and_b32_e32 v5, 0x7fffffff, v41
	v_mov_b32_e32 v4, v40
	v_and_b32_e32 v45, 0x7fffffff, v31
	v_mov_b32_e32 v44, v30
	v_div_scale_f64 v[46:47], s[60:61], v[44:45], v[44:45], v[4:5]
	v_rcp_f64_e32 v[48:49], v[46:47]
	v_div_scale_f64 v[4:5], vcc, v[4:5], v[44:45], v[4:5]
	v_fma_f64 v[50:51], -v[46:47], v[48:49], 1.0
	v_fmac_f64_e32 v[48:49], v[48:49], v[50:51]
	v_fma_f64 v[50:51], -v[46:47], v[48:49], 1.0
	v_fmac_f64_e32 v[48:49], v[48:49], v[50:51]
	v_mul_f64 v[44:45], v[4:5], v[48:49]
	v_fma_f64 v[4:5], -v[46:47], v[44:45], v[4:5]
	v_div_fmas_f64 v[4:5], v[4:5], v[48:49], v[44:45]
	v_div_fixup_f64 v[4:5], v[4:5], |v[30:31]|, |v[40:41]|
	v_fma_f64 v[4:5], v[4:5], v[4:5], 1.0
	v_cmp_gt_f64_e32 vcc, s[76:77], v[4:5]
	s_nop 1
	v_cndmask_b32_e32 v29, 0, v60, vcc
	v_ldexp_f64 v[4:5], v[4:5], v29
	v_rsq_f64_e32 v[44:45], v[4:5]
	v_cndmask_b32_e32 v29, 0, v61, vcc
	v_cmp_class_f64_e32 vcc, v[4:5], v7
	v_mul_f64 v[46:47], v[4:5], v[44:45]
	v_mul_f64 v[44:45], v[44:45], 0.5
	v_fma_f64 v[48:49], -v[44:45], v[46:47], 0.5
	v_fmac_f64_e32 v[46:47], v[46:47], v[48:49]
	v_fma_f64 v[50:51], -v[46:47], v[46:47], v[4:5]
	v_fmac_f64_e32 v[44:45], v[44:45], v[48:49]
	v_fmac_f64_e32 v[46:47], v[50:51], v[44:45]
	v_fma_f64 v[48:49], -v[46:47], v[46:47], v[4:5]
	v_fmac_f64_e32 v[46:47], v[48:49], v[44:45]
	v_ldexp_f64 v[44:45], v[46:47], v29
	v_cndmask_b32_e32 v5, v45, v5, vcc
	v_cndmask_b32_e32 v4, v44, v4, vcc
	v_mul_f64 v[44:45], |v[30:31]|, v[4:5]
.LBB22_181:                             ;   in Loop: Header=BB22_133 Depth=2
	s_or_b64 exec, exec, s[78:79]
.LBB22_182:                             ;   in Loop: Header=BB22_133 Depth=2
	s_andn2_saveexec_b64 s[6:7], s[6:7]
	s_cbranch_execz .LBB22_184
; %bb.183:                              ;   in Loop: Header=BB22_133 Depth=2
	v_and_b32_e32 v5, 0x7fffffff, v31
	v_mov_b32_e32 v4, v30
	v_and_b32_e32 v45, 0x7fffffff, v41
	v_mov_b32_e32 v44, v40
	v_div_scale_f64 v[46:47], s[60:61], v[44:45], v[44:45], v[4:5]
	v_rcp_f64_e32 v[48:49], v[46:47]
	v_div_scale_f64 v[4:5], vcc, v[4:5], v[44:45], v[4:5]
	v_fma_f64 v[50:51], -v[46:47], v[48:49], 1.0
	v_fmac_f64_e32 v[48:49], v[48:49], v[50:51]
	v_fma_f64 v[50:51], -v[46:47], v[48:49], 1.0
	v_fmac_f64_e32 v[48:49], v[48:49], v[50:51]
	v_mul_f64 v[44:45], v[4:5], v[48:49]
	v_fma_f64 v[4:5], -v[46:47], v[44:45], v[4:5]
	v_div_fmas_f64 v[4:5], v[4:5], v[48:49], v[44:45]
	v_div_fixup_f64 v[4:5], v[4:5], |v[40:41]|, |v[30:31]|
	v_fma_f64 v[4:5], v[4:5], v[4:5], 1.0
	v_cmp_gt_f64_e32 vcc, s[76:77], v[4:5]
	s_nop 1
	v_cndmask_b32_e32 v29, 0, v60, vcc
	v_ldexp_f64 v[4:5], v[4:5], v29
	v_rsq_f64_e32 v[44:45], v[4:5]
	v_cndmask_b32_e32 v29, 0, v61, vcc
	v_cmp_class_f64_e32 vcc, v[4:5], v7
	v_mul_f64 v[46:47], v[4:5], v[44:45]
	v_mul_f64 v[44:45], v[44:45], 0.5
	v_fma_f64 v[48:49], -v[44:45], v[46:47], 0.5
	v_fmac_f64_e32 v[46:47], v[46:47], v[48:49]
	v_fma_f64 v[50:51], -v[46:47], v[46:47], v[4:5]
	v_fmac_f64_e32 v[44:45], v[44:45], v[48:49]
	v_fmac_f64_e32 v[46:47], v[50:51], v[44:45]
	v_fma_f64 v[48:49], -v[46:47], v[46:47], v[4:5]
	v_fmac_f64_e32 v[46:47], v[48:49], v[44:45]
	v_ldexp_f64 v[44:45], v[46:47], v29
	v_cndmask_b32_e32 v5, v45, v5, vcc
	v_cndmask_b32_e32 v4, v44, v4, vcc
	v_mul_f64 v[44:45], |v[40:41]|, v[4:5]
.LBB22_184:                             ;   in Loop: Header=BB22_133 Depth=2
	s_or_b64 exec, exec, s[6:7]
	v_add_f64 v[48:49], v[38:39], v[2:3]
	v_cmp_gt_f64_e64 vcc, |v[2:3]|, |v[38:39]|
	s_nop 1
	v_cndmask_b32_e32 v47, v3, v39, vcc
	v_cndmask_b32_e32 v46, v2, v38, vcc
	;; [unrolled: 1-line block ×4, first 2 shown]
	v_cmp_ngt_f64_e32 vcc, 0, v[48:49]
                                        ; implicit-def: $vgpr4_vgpr5
	s_and_saveexec_b64 s[6:7], vcc
	s_xor_b64 s[6:7], exec, s[6:7]
	s_cbranch_execz .LBB22_190
; %bb.185:                              ;   in Loop: Header=BB22_133 Depth=2
	v_cmp_nlt_f64_e32 vcc, 0, v[48:49]
                                        ; implicit-def: $vgpr4_vgpr5
	s_and_saveexec_b64 s[60:61], vcc
	s_xor_b64 s[78:79], exec, s[60:61]
; %bb.186:                              ;   in Loop: Header=BB22_133 Depth=2
	v_mul_f64 v[2:3], v[44:45], 0.5
	v_mul_f64 v[4:5], v[44:45], -0.5
                                        ; implicit-def: $vgpr48_vgpr49
                                        ; implicit-def: $vgpr38_vgpr39
                                        ; implicit-def: $vgpr42_vgpr43
                                        ; implicit-def: $vgpr46_vgpr47
; %bb.187:                              ;   in Loop: Header=BB22_133 Depth=2
	s_andn2_saveexec_b64 s[78:79], s[78:79]
	s_cbranch_execz .LBB22_189
; %bb.188:                              ;   in Loop: Header=BB22_133 Depth=2
	v_add_f64 v[2:3], v[48:49], v[44:45]
	v_mul_f64 v[2:3], v[2:3], 0.5
	v_div_scale_f64 v[4:5], s[60:61], v[2:3], v[2:3], v[38:39]
	v_rcp_f64_e32 v[48:49], v[4:5]
	v_div_scale_f64 v[50:51], vcc, v[38:39], v[2:3], v[38:39]
	v_fma_f64 v[52:53], -v[4:5], v[48:49], 1.0
	v_fmac_f64_e32 v[48:49], v[48:49], v[52:53]
	v_fma_f64 v[52:53], -v[4:5], v[48:49], 1.0
	v_fmac_f64_e32 v[48:49], v[48:49], v[52:53]
	v_mul_f64 v[52:53], v[50:51], v[48:49]
	v_fma_f64 v[4:5], -v[4:5], v[52:53], v[50:51]
	v_div_scale_f64 v[50:51], s[60:61], v[2:3], v[2:3], v[42:43]
	v_rcp_f64_e32 v[54:55], v[50:51]
	v_div_fmas_f64 v[4:5], v[4:5], v[48:49], v[52:53]
	v_div_fixup_f64 v[4:5], v[4:5], v[2:3], v[38:39]
	v_fma_f64 v[38:39], -v[50:51], v[54:55], 1.0
	v_fmac_f64_e32 v[54:55], v[54:55], v[38:39]
	v_fma_f64 v[38:39], -v[50:51], v[54:55], 1.0
	v_fmac_f64_e32 v[54:55], v[54:55], v[38:39]
	v_div_scale_f64 v[38:39], vcc, v[42:43], v[2:3], v[42:43]
	v_mul_f64 v[48:49], v[38:39], v[54:55]
	v_fma_f64 v[38:39], -v[50:51], v[48:49], v[38:39]
	s_nop 1
	v_div_fmas_f64 v[38:39], v[38:39], v[54:55], v[48:49]
	v_div_fixup_f64 v[38:39], v[38:39], v[2:3], v[42:43]
	v_mul_f64 v[38:39], v[42:43], v[38:39]
	v_fma_f64 v[4:5], v[46:47], v[4:5], -v[38:39]
.LBB22_189:                             ;   in Loop: Header=BB22_133 Depth=2
	s_or_b64 exec, exec, s[78:79]
                                        ; implicit-def: $vgpr48_vgpr49
                                        ; implicit-def: $vgpr38_vgpr39
                                        ; implicit-def: $vgpr42_vgpr43
                                        ; implicit-def: $vgpr46_vgpr47
.LBB22_190:                             ;   in Loop: Header=BB22_133 Depth=2
	s_or_saveexec_b64 s[6:7], s[6:7]
	v_mov_b32_e32 v29, 1
	s_xor_b64 exec, exec, s[6:7]
	s_cbranch_execz .LBB22_192
; %bb.191:                              ;   in Loop: Header=BB22_133 Depth=2
	v_add_f64 v[2:3], v[48:49], -v[44:45]
	v_mul_f64 v[2:3], v[2:3], 0.5
	v_div_scale_f64 v[4:5], s[60:61], v[2:3], v[2:3], v[38:39]
	v_rcp_f64_e32 v[48:49], v[4:5]
	v_div_scale_f64 v[50:51], vcc, v[38:39], v[2:3], v[38:39]
	v_mov_b32_e32 v29, -1
	v_fma_f64 v[52:53], -v[4:5], v[48:49], 1.0
	v_fmac_f64_e32 v[48:49], v[48:49], v[52:53]
	v_fma_f64 v[52:53], -v[4:5], v[48:49], 1.0
	v_fmac_f64_e32 v[48:49], v[48:49], v[52:53]
	v_mul_f64 v[52:53], v[50:51], v[48:49]
	v_fma_f64 v[4:5], -v[4:5], v[52:53], v[50:51]
	v_div_scale_f64 v[50:51], s[60:61], v[2:3], v[2:3], v[42:43]
	v_rcp_f64_e32 v[54:55], v[50:51]
	v_div_fmas_f64 v[4:5], v[4:5], v[48:49], v[52:53]
	v_div_fixup_f64 v[4:5], v[4:5], v[2:3], v[38:39]
	v_fma_f64 v[38:39], -v[50:51], v[54:55], 1.0
	v_fmac_f64_e32 v[54:55], v[54:55], v[38:39]
	v_fma_f64 v[38:39], -v[50:51], v[54:55], 1.0
	v_fmac_f64_e32 v[54:55], v[54:55], v[38:39]
	v_div_scale_f64 v[38:39], vcc, v[42:43], v[2:3], v[42:43]
	v_mul_f64 v[48:49], v[38:39], v[54:55]
	v_fma_f64 v[38:39], -v[50:51], v[48:49], v[38:39]
	s_nop 1
	v_div_fmas_f64 v[38:39], v[38:39], v[54:55], v[48:49]
	v_div_fixup_f64 v[38:39], v[38:39], v[2:3], v[42:43]
	v_mul_f64 v[38:39], v[42:43], v[38:39]
	v_fma_f64 v[4:5], v[46:47], v[4:5], -v[38:39]
.LBB22_192:                             ;   in Loop: Header=BB22_133 Depth=2
	s_or_b64 exec, exec, s[6:7]
	v_xor_b32_e32 v38, 0x80000000, v45
	v_cmp_nle_f64_e64 s[6:7], 0, v[40:41]
                                        ; implicit-def: $vgpr42_vgpr43
	s_nop 1
	v_cndmask_b32_e64 v45, v45, v38, s[6:7]
	v_add_f64 v[38:39], v[40:41], v[44:45]
	v_cmp_ngt_f64_e64 s[60:61], |v[38:39]|, |v[30:31]|
                                        ; implicit-def: $vgpr40_vgpr41
	s_and_saveexec_b64 s[78:79], s[60:61]
	s_xor_b64 s[82:83], exec, s[78:79]
	s_cbranch_execz .LBB22_196
; %bb.193:                              ;   in Loop: Header=BB22_133 Depth=2
	v_mov_b64_e32 v[40:41], 0
	v_cmp_neq_f64_e32 vcc, 0, v[30:31]
	v_mov_b64_e32 v[42:43], 1.0
	s_and_saveexec_b64 s[78:79], vcc
	s_cbranch_execz .LBB22_195
; %bb.194:                              ;   in Loop: Header=BB22_133 Depth=2
	v_div_scale_f64 v[40:41], s[60:61], v[30:31], v[30:31], -v[38:39]
	v_rcp_f64_e32 v[42:43], v[40:41]
	v_div_scale_f64 v[44:45], vcc, -v[38:39], v[30:31], -v[38:39]
	v_fma_f64 v[46:47], -v[40:41], v[42:43], 1.0
	v_fmac_f64_e32 v[42:43], v[42:43], v[46:47]
	v_fma_f64 v[46:47], -v[40:41], v[42:43], 1.0
	v_fmac_f64_e32 v[42:43], v[42:43], v[46:47]
	v_mul_f64 v[46:47], v[44:45], v[42:43]
	v_fma_f64 v[40:41], -v[40:41], v[46:47], v[44:45]
	v_div_fmas_f64 v[40:41], v[40:41], v[42:43], v[46:47]
	v_div_fixup_f64 v[30:31], v[40:41], v[30:31], -v[38:39]
	v_fma_f64 v[38:39], v[30:31], v[30:31], 1.0
	v_cmp_gt_f64_e32 vcc, s[76:77], v[38:39]
	s_nop 1
	v_cndmask_b32_e32 v40, 0, v60, vcc
	v_ldexp_f64 v[38:39], v[38:39], v40
	v_rsq_f64_e32 v[40:41], v[38:39]
	s_nop 0
	v_mul_f64 v[42:43], v[38:39], v[40:41]
	v_mul_f64 v[40:41], v[40:41], 0.5
	v_fma_f64 v[44:45], -v[40:41], v[42:43], 0.5
	v_fmac_f64_e32 v[42:43], v[42:43], v[44:45]
	v_fma_f64 v[46:47], -v[42:43], v[42:43], v[38:39]
	v_fmac_f64_e32 v[40:41], v[40:41], v[44:45]
	v_fmac_f64_e32 v[42:43], v[46:47], v[40:41]
	v_fma_f64 v[44:45], -v[42:43], v[42:43], v[38:39]
	v_fmac_f64_e32 v[42:43], v[44:45], v[40:41]
	v_cndmask_b32_e32 v40, 0, v61, vcc
	v_ldexp_f64 v[40:41], v[42:43], v40
	v_cmp_class_f64_e32 vcc, v[38:39], v7
	s_nop 1
	v_cndmask_b32_e32 v39, v41, v39, vcc
	v_cndmask_b32_e32 v38, v40, v38, vcc
	v_div_scale_f64 v[40:41], s[60:61], v[38:39], v[38:39], 1.0
	v_rcp_f64_e32 v[42:43], v[40:41]
	s_nop 0
	v_fma_f64 v[44:45], -v[40:41], v[42:43], 1.0
	v_fmac_f64_e32 v[42:43], v[42:43], v[44:45]
	v_fma_f64 v[44:45], -v[40:41], v[42:43], 1.0
	v_fmac_f64_e32 v[42:43], v[42:43], v[44:45]
	v_div_scale_f64 v[44:45], vcc, 1.0, v[38:39], 1.0
	v_mul_f64 v[46:47], v[44:45], v[42:43]
	v_fma_f64 v[40:41], -v[40:41], v[46:47], v[44:45]
	s_nop 1
	v_div_fmas_f64 v[40:41], v[40:41], v[42:43], v[46:47]
	v_div_fixup_f64 v[42:43], v[40:41], v[38:39], 1.0
	v_mul_f64 v[40:41], v[30:31], v[42:43]
.LBB22_195:                             ;   in Loop: Header=BB22_133 Depth=2
	s_or_b64 exec, exec, s[78:79]
                                        ; implicit-def: $vgpr38_vgpr39
                                        ; implicit-def: $vgpr30_vgpr31
.LBB22_196:                             ;   in Loop: Header=BB22_133 Depth=2
	s_andn2_saveexec_b64 s[82:83], s[82:83]
	s_cbranch_execz .LBB22_198
; %bb.197:                              ;   in Loop: Header=BB22_133 Depth=2
	v_div_scale_f64 v[40:41], s[60:61], v[38:39], v[38:39], -v[30:31]
	v_rcp_f64_e32 v[42:43], v[40:41]
	v_div_scale_f64 v[44:45], vcc, -v[30:31], v[38:39], -v[30:31]
	v_fma_f64 v[46:47], -v[40:41], v[42:43], 1.0
	v_fmac_f64_e32 v[42:43], v[42:43], v[46:47]
	v_fma_f64 v[46:47], -v[40:41], v[42:43], 1.0
	v_fmac_f64_e32 v[42:43], v[42:43], v[46:47]
	v_mul_f64 v[46:47], v[44:45], v[42:43]
	v_fma_f64 v[40:41], -v[40:41], v[46:47], v[44:45]
	v_div_fmas_f64 v[40:41], v[40:41], v[42:43], v[46:47]
	v_div_fixup_f64 v[30:31], v[40:41], v[38:39], -v[30:31]
	v_fma_f64 v[38:39], v[30:31], v[30:31], 1.0
	v_cmp_gt_f64_e32 vcc, s[76:77], v[38:39]
	s_nop 1
	v_cndmask_b32_e32 v40, 0, v60, vcc
	v_ldexp_f64 v[38:39], v[38:39], v40
	v_rsq_f64_e32 v[40:41], v[38:39]
	s_nop 0
	v_mul_f64 v[42:43], v[38:39], v[40:41]
	v_mul_f64 v[40:41], v[40:41], 0.5
	v_fma_f64 v[44:45], -v[40:41], v[42:43], 0.5
	v_fmac_f64_e32 v[42:43], v[42:43], v[44:45]
	v_fma_f64 v[46:47], -v[42:43], v[42:43], v[38:39]
	v_fmac_f64_e32 v[40:41], v[40:41], v[44:45]
	v_fmac_f64_e32 v[42:43], v[46:47], v[40:41]
	v_fma_f64 v[44:45], -v[42:43], v[42:43], v[38:39]
	v_fmac_f64_e32 v[42:43], v[44:45], v[40:41]
	v_cndmask_b32_e32 v40, 0, v61, vcc
	v_ldexp_f64 v[40:41], v[42:43], v40
	v_cmp_class_f64_e32 vcc, v[38:39], v7
	s_nop 1
	v_cndmask_b32_e32 v39, v41, v39, vcc
	v_cndmask_b32_e32 v38, v40, v38, vcc
	v_div_scale_f64 v[40:41], s[60:61], v[38:39], v[38:39], 1.0
	v_rcp_f64_e32 v[42:43], v[40:41]
	s_nop 0
	v_fma_f64 v[44:45], -v[40:41], v[42:43], 1.0
	v_fmac_f64_e32 v[42:43], v[42:43], v[44:45]
	v_fma_f64 v[44:45], -v[40:41], v[42:43], 1.0
	v_fmac_f64_e32 v[42:43], v[42:43], v[44:45]
	v_div_scale_f64 v[44:45], vcc, 1.0, v[38:39], 1.0
	v_mul_f64 v[46:47], v[44:45], v[42:43]
	v_fma_f64 v[40:41], -v[40:41], v[46:47], v[44:45]
	s_nop 1
	v_div_fmas_f64 v[40:41], v[40:41], v[42:43], v[46:47]
	v_div_fixup_f64 v[40:41], v[40:41], v[38:39], 1.0
	v_mul_f64 v[42:43], v[30:31], v[40:41]
.LBB22_198:                             ;   in Loop: Header=BB22_133 Depth=2
	s_or_b64 exec, exec, s[82:83]
	v_cndmask_b32_e64 v30, 1, -1, s[6:7]
	v_xor_b32_e32 v31, 0x80000000, v41
	v_cmp_eq_u32_e32 vcc, v29, v30
	v_lshl_add_u64 v[32:33], v[32:33], 3, s[50:51]
	s_nop 0
	v_cndmask_b32_e32 v31, v43, v31, vcc
	v_cndmask_b32_e32 v30, v42, v40, vcc
	;; [unrolled: 1-line block ×4, first 2 shown]
	global_store_dwordx2 v[32:33], v[30:31], off
	v_lshl_add_u64 v[30:31], s[34:35], 3, v[32:33]
	global_store_dwordx2 v[30:31], v[38:39], off offset:-8
	global_store_dwordx4 v[34:35], v[2:5], off offset:-8
	s_nop 1
	v_lshl_add_u64 v[2:3], v[36:37], 3, s[48:49]
	global_store_dwordx2 v[2:3], v[8:9], off offset:-8
	v_add_u32_e32 v2, -2, v28
	ds_write_b32 v8, v2 offset:16
	s_or_b64 exec, exec, s[80:81]
                                        ; implicit-def: $vgpr2
.LBB22_199:                             ;   in Loop: Header=BB22_133 Depth=2
	s_andn2_saveexec_b64 s[6:7], s[8:9]
.LBB22_200:                             ;   in Loop: Header=BB22_133 Depth=2
	ds_write_b32 v8, v2 offset:16
.LBB22_201:                             ;   in Loop: Header=BB22_133 Depth=2
	s_or_b64 exec, exec, s[6:7]
.LBB22_202:                             ;   in Loop: Header=BB22_133 Depth=2
	s_or_b64 exec, exec, s[2:3]
	s_waitcnt lgkmcnt(0)
	s_barrier
	ds_read_b64 v[2:3], v8 offset:16
	s_waitcnt lgkmcnt(0)
	v_readfirstlane_b32 s6, v3
	s_nop 1
	v_cmp_eq_u32_e32 vcc, s6, v2
	v_mov_b32_e32 v28, s6
	s_cbranch_vccnz .LBB22_132
; %bb.203:                              ;   in Loop: Header=BB22_133 Depth=2
	s_and_saveexec_b64 s[2:3], s[4:5]
	s_cbranch_execz .LBB22_131
; %bb.204:                              ;   in Loop: Header=BB22_133 Depth=2
	ds_read_b32 v2, v8 offset:28
	s_ashr_i32 s7, s6, 31
	s_lshl_b64 s[60:61], s[6:7], 3
	s_mul_i32 s8, s6, s15
	s_mov_b64 s[84:85], 0
	s_waitcnt lgkmcnt(0)
	v_readfirstlane_b32 s7, v2
	s_sub_i32 s39, s7, s6
	s_add_u32 s6, s50, s60
	s_addc_u32 s7, s51, s61
	s_ashr_i32 s9, s8, 31
	s_lshl_b64 s[60:61], s[8:9], 4
	s_add_u32 s8, s14, s60
	s_addc_u32 s9, s0, s61
	s_cmp_gt_i32 s39, 0
	s_mul_hi_i32 s79, s39, s52
	s_mul_i32 s78, s39, s52
	s_cselect_b64 s[80:81], -1, 0
	s_lshl_b64 s[78:79], s[78:79], 4
	s_add_u32 s82, s8, s78
	s_addc_u32 s83, s9, s79
	v_lshl_add_u64 v[28:29], v[12:13], 0, s[60:61]
	v_mov_b32_e32 v30, v6
	s_branch .LBB22_206
.LBB22_205:                             ;   in Loop: Header=BB22_206 Depth=3
	v_lshl_add_u64 v[32:33], v[30:31], 4, s[82:83]
	v_add_u32_e32 v30, s38, v30
	v_cmp_le_i32_e32 vcc, s34, v30
	s_or_b64 s[84:85], vcc, s[84:85]
	v_lshl_add_u64 v[28:29], v[28:29], 0, s[68:69]
	s_waitcnt vmcnt(0)
	global_store_dwordx4 v[32:33], v[2:5], off
	s_andn2_b64 exec, exec, s[84:85]
	s_cbranch_execz .LBB22_131
.LBB22_206:                             ;   Parent Loop BB22_7 Depth=1
                                        ;     Parent Loop BB22_133 Depth=2
                                        ; =>    This Loop Header: Depth=3
                                        ;         Child Loop BB22_207 Depth 4
	v_ashrrev_i32_e32 v31, 31, v30
	v_lshl_add_u64 v[2:3], v[30:31], 4, s[8:9]
	global_load_dwordx4 v[2:5], v[2:3], off
	s_andn2_b64 vcc, exec, s[80:81]
	s_mov_b64 s[78:79], s[6:7]
	v_mov_b64_e32 v[32:33], v[28:29]
	s_mov_b32 s43, s39
	s_cbranch_vccnz .LBB22_205
.LBB22_207:                             ;   Parent Loop BB22_7 Depth=1
                                        ;     Parent Loop BB22_133 Depth=2
                                        ;       Parent Loop BB22_206 Depth=3
                                        ; =>      This Inner Loop Header: Depth=4
	s_add_u32 s60, s78, s64
	v_lshl_add_u64 v[42:43], v[32:33], 0, s[66:67]
	s_addc_u32 s61, s79, s65
	global_load_dwordx4 v[34:37], v[42:43], off offset:-8
	global_load_dwordx2 v[44:45], v8, s[60:61]
	global_load_dwordx2 v[46:47], v8, s[78:79]
	s_add_i32 s43, s43, -1
	s_add_u32 s78, s78, 8
	s_addc_u32 s79, s79, 0
	s_cmp_eq_u32 s43, 0
	s_waitcnt vmcnt(1)
	v_mul_f64 v[38:39], v[44:45], v[34:35]
	v_mul_f64 v[40:41], v[44:45], v[36:37]
	;; [unrolled: 1-line block ×4, first 2 shown]
	s_waitcnt vmcnt(0)
	v_fmac_f64_e32 v[38:39], v[2:3], v[46:47]
	v_fmac_f64_e32 v[40:41], v[4:5], v[46:47]
	v_fma_f64 v[2:3], v[46:47], v[34:35], -v[48:49]
	v_fma_f64 v[4:5], v[46:47], v[36:37], -v[44:45]
	global_store_dwordx4 v[32:33], v[38:41], off offset:-8
	v_mov_b64_e32 v[32:33], v[42:43]
	s_cbranch_scc0 .LBB22_207
	s_branch .LBB22_205
.LBB22_208:                             ;   in Loop: Header=BB22_133 Depth=2
	s_or_b64 exec, exec, s[80:81]
                                        ; implicit-def: $vgpr2
	s_andn2_saveexec_b64 s[6:7], s[8:9]
	s_cbranch_execnz .LBB22_200
	s_branch .LBB22_201
.LBB22_209:                             ;   in Loop: Header=BB22_7 Depth=1
	v_mov_b32_e32 v62, v29
	v_mov_b64_e32 v[16:17], v[32:33]
	v_mov_b64_e32 v[18:19], v[34:35]
.LBB22_210:                             ;   in Loop: Header=BB22_7 Depth=1
	s_barrier
	ds_read_b64 v[2:3], v8 offset:8
	s_waitcnt lgkmcnt(0)
	v_cmp_nlt_f64_e32 vcc, s[46:47], v[2:3]
	s_cbranch_vccnz .LBB22_217
; %bb.211:                              ;   in Loop: Header=BB22_7 Depth=1
	v_div_scale_f64 v[28:29], s[2:3], v[2:3], v[2:3], s[46:47]
	v_rcp_f64_e32 v[30:31], v[28:29]
	ds_read2_b32 v[4:5], v8 offset0:7 offset1:10
	v_fma_f64 v[32:33], -v[28:29], v[30:31], 1.0
	v_fmac_f64_e32 v[30:31], v[30:31], v[32:33]
	v_fma_f64 v[32:33], -v[28:29], v[30:31], 1.0
	v_fmac_f64_e32 v[30:31], v[30:31], v[32:33]
	v_div_scale_f64 v[32:33], vcc, s[46:47], v[2:3], s[46:47]
	v_mul_f64 v[34:35], v[32:33], v[30:31]
	v_fma_f64 v[28:29], -v[28:29], v[34:35], v[32:33]
	s_nop 1
	v_div_fmas_f64 v[28:29], v[28:29], v[30:31], v[34:35]
	v_div_fixup_f64 v[28:29], v[28:29], v[2:3], s[46:47]
	s_and_saveexec_b64 s[2:3], s[10:11]
	s_cbranch_execz .LBB22_213
; %bb.212:                              ;   in Loop: Header=BB22_7 Depth=1
	s_waitcnt lgkmcnt(0)
	v_ashrrev_i32_e32 v31, 31, v5
	v_mov_b32_e32 v30, v5
	v_lshlrev_b64 v[30:31], 3, v[30:31]
	v_lshl_add_u64 v[30:31], s[22:23], 0, v[30:31]
	global_load_dwordx2 v[32:33], v[30:31], off
	s_waitcnt vmcnt(0)
	v_mul_f64 v[32:33], v[28:29], v[32:33]
	global_store_dwordx2 v[30:31], v[32:33], off
.LBB22_213:                             ;   in Loop: Header=BB22_7 Depth=1
	s_or_b64 exec, exec, s[2:3]
	s_waitcnt lgkmcnt(0)
	v_add_u32_e32 v30, v4, v6
	v_cmp_lt_i32_e32 vcc, v30, v5
	s_and_saveexec_b64 s[2:3], vcc
	s_cbranch_execz .LBB22_216
; %bb.214:                              ;   in Loop: Header=BB22_7 Depth=1
	v_ashrrev_i32_e32 v31, 31, v30
	v_lshlrev_b64 v[32:33], 3, v[30:31]
	s_mov_b64 s[6:7], 0
.LBB22_215:                             ;   Parent Loop BB22_7 Depth=1
                                        ; =>  This Inner Loop Header: Depth=2
	v_lshl_add_u64 v[34:35], s[22:23], 0, v[32:33]
	global_load_dwordx2 v[36:37], v[34:35], off
	v_lshl_add_u64 v[38:39], s[48:49], 0, v[32:33]
	v_add_u32_e32 v30, s38, v30
	v_cmp_ge_i32_e32 vcc, v30, v5
	v_lshl_add_u64 v[32:33], v[32:33], 0, s[56:57]
	s_or_b64 s[6:7], vcc, s[6:7]
	s_waitcnt vmcnt(0)
	v_mul_f64 v[36:37], v[28:29], v[36:37]
	global_store_dwordx2 v[34:35], v[36:37], off
	global_load_dwordx2 v[34:35], v[38:39], off
	s_waitcnt vmcnt(0)
	v_mul_f64 v[34:35], v[28:29], v[34:35]
	global_store_dwordx2 v[38:39], v[34:35], off
	s_andn2_b64 exec, exec, s[6:7]
	s_cbranch_execnz .LBB22_215
.LBB22_216:                             ;   in Loop: Header=BB22_7 Depth=1
	s_or_b64 exec, exec, s[2:3]
.LBB22_217:                             ;   in Loop: Header=BB22_7 Depth=1
	v_cmp_ngt_f64_e32 vcc, s[30:31], v[2:3]
	s_cbranch_vccnz .LBB22_5
; %bb.218:                              ;   in Loop: Header=BB22_7 Depth=1
	v_div_scale_f64 v[28:29], s[2:3], v[2:3], v[2:3], s[30:31]
	v_rcp_f64_e32 v[30:31], v[28:29]
	ds_read2_b32 v[4:5], v8 offset0:7 offset1:10
	v_fma_f64 v[32:33], -v[28:29], v[30:31], 1.0
	v_fmac_f64_e32 v[30:31], v[30:31], v[32:33]
	v_fma_f64 v[32:33], -v[28:29], v[30:31], 1.0
	v_fmac_f64_e32 v[30:31], v[30:31], v[32:33]
	v_div_scale_f64 v[32:33], vcc, s[30:31], v[2:3], s[30:31]
	v_mul_f64 v[34:35], v[32:33], v[30:31]
	v_fma_f64 v[28:29], -v[28:29], v[34:35], v[32:33]
	s_nop 1
	v_div_fmas_f64 v[28:29], v[28:29], v[30:31], v[34:35]
	v_div_fixup_f64 v[2:3], v[28:29], v[2:3], s[30:31]
	s_and_saveexec_b64 s[2:3], s[10:11]
	s_cbranch_execz .LBB22_220
; %bb.219:                              ;   in Loop: Header=BB22_7 Depth=1
	s_waitcnt lgkmcnt(0)
	v_ashrrev_i32_e32 v29, 31, v5
	v_mov_b32_e32 v28, v5
	v_lshlrev_b64 v[28:29], 3, v[28:29]
	v_lshl_add_u64 v[28:29], s[22:23], 0, v[28:29]
	global_load_dwordx2 v[30:31], v[28:29], off
	s_waitcnt vmcnt(0)
	v_mul_f64 v[30:31], v[2:3], v[30:31]
	global_store_dwordx2 v[28:29], v[30:31], off
.LBB22_220:                             ;   in Loop: Header=BB22_7 Depth=1
	s_or_b64 exec, exec, s[2:3]
	s_waitcnt lgkmcnt(0)
	v_add_u32_e32 v28, v4, v6
	v_cmp_lt_i32_e32 vcc, v28, v5
	s_and_saveexec_b64 s[2:3], vcc
	s_cbranch_execz .LBB22_4
; %bb.221:                              ;   in Loop: Header=BB22_7 Depth=1
	v_ashrrev_i32_e32 v29, 31, v28
	v_lshlrev_b64 v[30:31], 3, v[28:29]
	s_mov_b64 s[6:7], 0
.LBB22_222:                             ;   Parent Loop BB22_7 Depth=1
                                        ; =>  This Inner Loop Header: Depth=2
	v_lshl_add_u64 v[32:33], s[22:23], 0, v[30:31]
	global_load_dwordx2 v[34:35], v[32:33], off
	v_lshl_add_u64 v[36:37], s[48:49], 0, v[30:31]
	v_add_u32_e32 v28, s38, v28
	v_cmp_ge_i32_e32 vcc, v28, v5
	v_lshl_add_u64 v[30:31], v[30:31], 0, s[56:57]
	s_or_b64 s[6:7], vcc, s[6:7]
	s_waitcnt vmcnt(0)
	v_mul_f64 v[34:35], v[2:3], v[34:35]
	global_store_dwordx2 v[32:33], v[34:35], off
	global_load_dwordx2 v[32:33], v[36:37], off
	s_waitcnt vmcnt(0)
	v_mul_f64 v[32:33], v[2:3], v[32:33]
	global_store_dwordx2 v[36:37], v[32:33], off
	s_andn2_b64 exec, exec, s[6:7]
	s_cbranch_execnz .LBB22_222
	s_branch .LBB22_4
.LBB22_223:
	v_cmp_gt_i32_e32 vcc, s42, v6
	s_and_saveexec_b64 s[0:1], vcc
	s_cbranch_execz .LBB22_229
; %bb.224:
	s_lshl_b64 s[2:3], s[40:41], 2
	s_add_u32 s2, s18, s2
	s_addc_u32 s3, s19, s3
	s_lshl_b64 s[4:5], s[44:45], 3
	s_add_u32 s4, s24, s4
	v_ashrrev_i32_e32 v7, 31, v6
	s_addc_u32 s5, s25, s5
	s_ashr_i32 s39, s38, 31
	v_lshl_add_u64 v[2:3], v[6:7], 3, s[4:5]
	s_lshl_b64 s[4:5], s[38:39], 3
	s_mov_b64 s[6:7], 0
	v_mov_b32_e32 v4, 0
	s_branch .LBB22_226
.LBB22_225:                             ;   in Loop: Header=BB22_226 Depth=1
	s_or_b64 exec, exec, s[8:9]
	v_add_u32_e32 v6, s38, v6
	v_cmp_le_i32_e32 vcc, s42, v6
	s_or_b64 s[6:7], vcc, s[6:7]
	v_lshl_add_u64 v[2:3], v[2:3], 0, s[4:5]
	s_andn2_b64 exec, exec, s[6:7]
	s_cbranch_execz .LBB22_229
.LBB22_226:                             ; =>This Inner Loop Header: Depth=1
	global_load_dwordx2 v[8:9], v[2:3], off
	s_waitcnt vmcnt(0)
	v_cmp_neq_f64_e32 vcc, 0, v[8:9]
	s_and_saveexec_b64 s[8:9], vcc
	s_cbranch_execz .LBB22_225
; %bb.227:                              ;   in Loop: Header=BB22_226 Depth=1
	s_mov_b64 s[18:19], exec
	v_mbcnt_lo_u32_b32 v5, s18, 0
	v_mbcnt_hi_u32_b32 v5, s19, v5
	v_cmp_eq_u32_e32 vcc, 0, v5
	s_and_b64 s[24:25], exec, vcc
	s_mov_b64 exec, s[24:25]
	s_cbranch_execz .LBB22_225
; %bb.228:                              ;   in Loop: Header=BB22_226 Depth=1
	s_bcnt1_i32_b64 s14, s[18:19]
	v_mov_b32_e32 v5, s14
	global_atomic_add v4, v5, s[2:3]
	s_branch .LBB22_225
.LBB22_229:
	s_or_b64 exec, exec, s[0:1]
	s_cmp_lt_i32 s34, 2
	s_cbranch_scc1 .LBB22_242
; %bb.230:
	v_readlane_b32 s2, v65, 0
	v_readlane_b32 s3, v65, 1
	s_load_dwordx2 s[0:1], s[2:3], 0x4
	v_bfe_u32 v2, v0, 10, 10
	v_bfe_u32 v0, v0, 20, 10
	v_mov_b32_e32 v7, 0
	s_waitcnt lgkmcnt(0)
	s_lshr_b32 s0, s0, 16
	v_mul_u32_u24_e32 v2, s1, v2
	s_mul_i32 s0, s0, s1
	s_add_u32 s1, s20, s36
	s_addc_u32 s2, s21, s37
	v_mul_lo_u32 v1, s0, v1
	s_add_u32 s0, s1, 8
	s_addc_u32 s1, s2, 0
	s_lshl_b64 s[2:3], s[16:17], 4
	s_lshl_b64 s[4:5], s[26:27], 4
	s_add_u32 s2, s2, s4
	s_addc_u32 s3, s3, s5
	v_add3_u32 v0, v1, v2, v0
	s_add_u32 s14, s12, s2
	v_lshl_add_u32 v6, v0, 4, 48
	s_addc_u32 s16, s13, s3
	s_mov_b32 s2, 1
	s_branch .LBB22_232
.LBB22_231:                             ;   in Loop: Header=BB22_232 Depth=1
	s_add_i32 s2, s2, 1
	s_add_u32 s0, s0, 8
	s_addc_u32 s1, s1, 0
	s_cmp_lg_u32 s2, s34
	s_waitcnt lgkmcnt(0)
	s_barrier
	s_cbranch_scc0 .LBB22_242
.LBB22_232:                             ; =>This Loop Header: Depth=1
                                        ;     Child Loop BB22_235 Depth 2
                                        ;     Child Loop BB22_241 Depth 2
	s_and_saveexec_b64 s[4:5], s[10:11]
	s_cbranch_execz .LBB22_239
; %bb.233:                              ;   in Loop: Header=BB22_232 Depth=1
	s_ashr_i32 s3, s2, 31
	s_add_i32 s13, s2, -1
	s_lshl_b64 s[6:7], s[2:3], 3
	s_add_u32 s6, s22, s6
	s_addc_u32 s7, s23, s7
	global_load_dwordx2 v[0:1], v7, s[6:7] offset:-8
	v_mov_b32_e32 v2, s13
	v_mov_b32_e32 v3, s13
	s_mov_b64 s[8:9], s[0:1]
	s_mov_b32 s3, s2
	s_mov_b32 s12, s13
	s_waitcnt vmcnt(0)
	ds_write2_b64 v7, v[0:1], v[2:3] offset1:2
	v_mov_b64_e32 v[2:3], v[0:1]
	s_branch .LBB22_235
.LBB22_234:                             ;   in Loop: Header=BB22_235 Depth=2
	s_add_i32 s3, s3, 1
	s_add_u32 s8, s8, 8
	s_addc_u32 s9, s9, 0
	s_cmp_eq_u32 s34, s3
	s_cbranch_scc1 .LBB22_237
.LBB22_235:                             ;   Parent Loop BB22_232 Depth=1
                                        ; =>  This Inner Loop Header: Depth=2
	global_load_dwordx2 v[4:5], v7, s[8:9]
	s_waitcnt vmcnt(0)
	v_cmp_nlt_f64_e32 vcc, v[4:5], v[2:3]
	s_cbranch_vccnz .LBB22_234
; %bb.236:                              ;   in Loop: Header=BB22_235 Depth=2
	v_mov_b32_e32 v2, s3
	ds_write_b32 v7, v2 offset:20
	ds_write_b64 v7, v[4:5]
	s_mov_b32 s12, s3
	v_mov_b64_e32 v[2:3], v[4:5]
	s_branch .LBB22_234
.LBB22_237:                             ;   in Loop: Header=BB22_232 Depth=1
	s_cmp_lg_u32 s12, s13
	s_cbranch_scc0 .LBB22_239
; %bb.238:                              ;   in Loop: Header=BB22_232 Depth=1
	s_ashr_i32 s13, s12, 31
	s_lshl_b64 s[8:9], s[12:13], 3
	s_add_u32 s8, s22, s8
	s_addc_u32 s9, s23, s9
	global_store_dwordx2 v7, v[0:1], s[8:9]
	global_store_dwordx2 v7, v[2:3], s[6:7] offset:-8
.LBB22_239:                             ;   in Loop: Header=BB22_232 Depth=1
	s_or_b64 exec, exec, s[4:5]
	s_waitcnt lgkmcnt(0)
	s_barrier
	ds_read_b64 v[0:1], v7 offset:16
	s_waitcnt lgkmcnt(0)
	v_readfirstlane_b32 s3, v0
	v_readfirstlane_b32 s4, v1
	s_cmp_eq_u32 s4, s3
	s_cbranch_scc1 .LBB22_231
; %bb.240:                              ;   in Loop: Header=BB22_232 Depth=1
	s_mul_i32 s4, s4, s15
	s_ashr_i32 s5, s4, 31
	s_lshl_b64 s[4:5], s[4:5], 4
	s_mul_i32 s6, s3, s15
	s_add_u32 s4, s14, s4
	s_addc_u32 s5, s16, s5
	s_ashr_i32 s7, s6, 31
	s_lshl_b64 s[6:7], s[6:7], 4
	s_add_u32 s6, s14, s6
	s_addc_u32 s7, s16, s7
	s_mov_b32 s3, s34
.LBB22_241:                             ;   Parent Loop BB22_232 Depth=1
                                        ; =>  This Inner Loop Header: Depth=2
	global_load_dwordx4 v[0:3], v7, s[4:5]
	global_load_dwordx4 v[8:11], v7, s[6:7]
	s_add_i32 s3, s3, -1
	s_waitcnt vmcnt(1)
	global_store_dwordx4 v7, v[0:3], s[6:7]
	s_waitcnt vmcnt(1)
	global_store_dwordx4 v7, v[8:11], s[4:5]
	s_add_u32 s4, s4, 16
	s_addc_u32 s5, s5, 0
	s_add_u32 s6, s6, 16
	s_addc_u32 s7, s7, 0
	s_cmp_lg_u32 s3, 0
	ds_write2_b64 v6, v[8:9], v[10:11] offset1:1
	s_cbranch_scc1 .LBB22_241
	s_branch .LBB22_231
.LBB22_242:
	s_endpgm
	.section	.rodata,"a",@progbits
	.p2align	6, 0x0
	.amdhsa_kernel _ZN9rocsolver6v33100L12steqr_kernelI19rocblas_complex_numIdEdPS3_EEviPT0_lS6_lT1_iilPiS6_iS5_S5_S5_
		.amdhsa_group_segment_fixed_size 16432
		.amdhsa_private_segment_fixed_size 0
		.amdhsa_kernarg_size 368
		.amdhsa_user_sgpr_count 4
		.amdhsa_user_sgpr_dispatch_ptr 1
		.amdhsa_user_sgpr_queue_ptr 0
		.amdhsa_user_sgpr_kernarg_segment_ptr 1
		.amdhsa_user_sgpr_dispatch_id 0
		.amdhsa_user_sgpr_kernarg_preload_length 0
		.amdhsa_user_sgpr_kernarg_preload_offset 0
		.amdhsa_user_sgpr_private_segment_size 0
		.amdhsa_uses_dynamic_stack 0
		.amdhsa_enable_private_segment 0
		.amdhsa_system_sgpr_workgroup_id_x 1
		.amdhsa_system_sgpr_workgroup_id_y 1
		.amdhsa_system_sgpr_workgroup_id_z 0
		.amdhsa_system_sgpr_workgroup_info 0
		.amdhsa_system_vgpr_workitem_id 2
		.amdhsa_next_free_vgpr 72
		.amdhsa_next_free_sgpr 100
		.amdhsa_accum_offset 72
		.amdhsa_reserve_vcc 1
		.amdhsa_float_round_mode_32 0
		.amdhsa_float_round_mode_16_64 0
		.amdhsa_float_denorm_mode_32 3
		.amdhsa_float_denorm_mode_16_64 3
		.amdhsa_dx10_clamp 1
		.amdhsa_ieee_mode 1
		.amdhsa_fp16_overflow 0
		.amdhsa_tg_split 0
		.amdhsa_exception_fp_ieee_invalid_op 0
		.amdhsa_exception_fp_denorm_src 0
		.amdhsa_exception_fp_ieee_div_zero 0
		.amdhsa_exception_fp_ieee_overflow 0
		.amdhsa_exception_fp_ieee_underflow 0
		.amdhsa_exception_fp_ieee_inexact 0
		.amdhsa_exception_int_div_zero 0
	.end_amdhsa_kernel
	.section	.text._ZN9rocsolver6v33100L12steqr_kernelI19rocblas_complex_numIdEdPS3_EEviPT0_lS6_lT1_iilPiS6_iS5_S5_S5_,"axG",@progbits,_ZN9rocsolver6v33100L12steqr_kernelI19rocblas_complex_numIdEdPS3_EEviPT0_lS6_lT1_iilPiS6_iS5_S5_S5_,comdat
.Lfunc_end22:
	.size	_ZN9rocsolver6v33100L12steqr_kernelI19rocblas_complex_numIdEdPS3_EEviPT0_lS6_lT1_iilPiS6_iS5_S5_S5_, .Lfunc_end22-_ZN9rocsolver6v33100L12steqr_kernelI19rocblas_complex_numIdEdPS3_EEviPT0_lS6_lT1_iilPiS6_iS5_S5_S5_
                                        ; -- End function
	.set _ZN9rocsolver6v33100L12steqr_kernelI19rocblas_complex_numIdEdPS3_EEviPT0_lS6_lT1_iilPiS6_iS5_S5_S5_.num_vgpr, 72
	.set _ZN9rocsolver6v33100L12steqr_kernelI19rocblas_complex_numIdEdPS3_EEviPT0_lS6_lT1_iilPiS6_iS5_S5_S5_.num_agpr, 0
	.set _ZN9rocsolver6v33100L12steqr_kernelI19rocblas_complex_numIdEdPS3_EEviPT0_lS6_lT1_iilPiS6_iS5_S5_S5_.numbered_sgpr, 100
	.set _ZN9rocsolver6v33100L12steqr_kernelI19rocblas_complex_numIdEdPS3_EEviPT0_lS6_lT1_iilPiS6_iS5_S5_S5_.num_named_barrier, 0
	.set _ZN9rocsolver6v33100L12steqr_kernelI19rocblas_complex_numIdEdPS3_EEviPT0_lS6_lT1_iilPiS6_iS5_S5_S5_.private_seg_size, 0
	.set _ZN9rocsolver6v33100L12steqr_kernelI19rocblas_complex_numIdEdPS3_EEviPT0_lS6_lT1_iilPiS6_iS5_S5_S5_.uses_vcc, 1
	.set _ZN9rocsolver6v33100L12steqr_kernelI19rocblas_complex_numIdEdPS3_EEviPT0_lS6_lT1_iilPiS6_iS5_S5_S5_.uses_flat_scratch, 0
	.set _ZN9rocsolver6v33100L12steqr_kernelI19rocblas_complex_numIdEdPS3_EEviPT0_lS6_lT1_iilPiS6_iS5_S5_S5_.has_dyn_sized_stack, 0
	.set _ZN9rocsolver6v33100L12steqr_kernelI19rocblas_complex_numIdEdPS3_EEviPT0_lS6_lT1_iilPiS6_iS5_S5_S5_.has_recursion, 0
	.set _ZN9rocsolver6v33100L12steqr_kernelI19rocblas_complex_numIdEdPS3_EEviPT0_lS6_lT1_iilPiS6_iS5_S5_S5_.has_indirect_call, 0
	.section	.AMDGPU.csdata,"",@progbits
; Kernel info:
; codeLenInByte = 13648
; TotalNumSgprs: 106
; NumVgprs: 72
; NumAgprs: 0
; TotalNumVgprs: 72
; ScratchSize: 0
; MemoryBound: 0
; FloatMode: 240
; IeeeMode: 1
; LDSByteSize: 16432 bytes/workgroup (compile time only)
; SGPRBlocks: 13
; VGPRBlocks: 8
; NumSGPRsForWavesPerEU: 106
; NumVGPRsForWavesPerEU: 72
; AccumOffset: 72
; Occupancy: 7
; WaveLimiterHint : 0
; COMPUTE_PGM_RSRC2:SCRATCH_EN: 0
; COMPUTE_PGM_RSRC2:USER_SGPR: 4
; COMPUTE_PGM_RSRC2:TRAP_HANDLER: 0
; COMPUTE_PGM_RSRC2:TGID_X_EN: 1
; COMPUTE_PGM_RSRC2:TGID_Y_EN: 1
; COMPUTE_PGM_RSRC2:TGID_Z_EN: 0
; COMPUTE_PGM_RSRC2:TIDIG_COMP_CNT: 2
; COMPUTE_PGM_RSRC3_GFX90A:ACCUM_OFFSET: 17
; COMPUTE_PGM_RSRC3_GFX90A:TG_SPLIT: 0
	.section	.AMDGPU.gpr_maximums,"",@progbits
	.set amdgpu.max_num_vgpr, 0
	.set amdgpu.max_num_agpr, 0
	.set amdgpu.max_num_sgpr, 0
	.section	.AMDGPU.csdata,"",@progbits
	.type	__hip_cuid_4d5551edaf1cbf73,@object ; @__hip_cuid_4d5551edaf1cbf73
	.section	.bss,"aw",@nobits
	.globl	__hip_cuid_4d5551edaf1cbf73
__hip_cuid_4d5551edaf1cbf73:
	.byte	0                               ; 0x0
	.size	__hip_cuid_4d5551edaf1cbf73, 1

	.ident	"AMD clang version 22.0.0git (https://github.com/RadeonOpenCompute/llvm-project roc-7.2.4 26084 f58b06dce1f9c15707c5f808fd002e18c2accf7e)"
	.section	".note.GNU-stack","",@progbits
	.addrsig
	.addrsig_sym __hip_cuid_4d5551edaf1cbf73
	.amdgpu_metadata
---
amdhsa.kernels:
  - .agpr_count:     0
    .args:
      - .address_space:  global
        .offset:         0
        .size:           8
        .value_kind:     global_buffer
      - .offset:         8
        .size:           4
        .value_kind:     by_value
      - .offset:         12
        .size:           4
        .value_kind:     by_value
      - .offset:         16
        .size:           4
        .value_kind:     by_value
      - .offset:         24
        .size:           4
        .value_kind:     hidden_block_count_x
      - .offset:         28
        .size:           4
        .value_kind:     hidden_block_count_y
      - .offset:         32
        .size:           4
        .value_kind:     hidden_block_count_z
      - .offset:         36
        .size:           2
        .value_kind:     hidden_group_size_x
      - .offset:         38
        .size:           2
        .value_kind:     hidden_group_size_y
      - .offset:         40
        .size:           2
        .value_kind:     hidden_group_size_z
      - .offset:         42
        .size:           2
        .value_kind:     hidden_remainder_x
      - .offset:         44
        .size:           2
        .value_kind:     hidden_remainder_y
      - .offset:         46
        .size:           2
        .value_kind:     hidden_remainder_z
      - .offset:         64
        .size:           8
        .value_kind:     hidden_global_offset_x
      - .offset:         72
        .size:           8
        .value_kind:     hidden_global_offset_y
      - .offset:         80
        .size:           8
        .value_kind:     hidden_global_offset_z
      - .offset:         88
        .size:           2
        .value_kind:     hidden_grid_dims
    .group_segment_fixed_size: 0
    .kernarg_segment_align: 8
    .kernarg_segment_size: 280
    .language:       OpenCL C
    .language_version:
      - 2
      - 0
    .max_flat_workgroup_size: 1024
    .name:           _ZN9rocsolver6v33100L10reset_infoIiiiEEvPT_T0_T1_S4_
    .private_segment_fixed_size: 0
    .sgpr_count:     14
    .sgpr_spill_count: 0
    .symbol:         _ZN9rocsolver6v33100L10reset_infoIiiiEEvPT_T0_T1_S4_.kd
    .uniform_work_group_size: 1
    .uses_dynamic_stack: false
    .vgpr_count:     3
    .vgpr_spill_count: 0
    .wavefront_size: 64
  - .agpr_count:     0
    .args:
      - .address_space:  global
        .offset:         0
        .size:           8
        .value_kind:     global_buffer
      - .offset:         8
        .size:           8
        .value_kind:     by_value
      - .offset:         16
        .size:           4
        .value_kind:     by_value
      - .offset:         20
        .size:           4
        .value_kind:     by_value
      - .offset:         24
        .size:           4
        .value_kind:     hidden_block_count_x
      - .offset:         28
        .size:           4
        .value_kind:     hidden_block_count_y
      - .offset:         32
        .size:           4
        .value_kind:     hidden_block_count_z
      - .offset:         36
        .size:           2
        .value_kind:     hidden_group_size_x
      - .offset:         38
        .size:           2
        .value_kind:     hidden_group_size_y
      - .offset:         40
        .size:           2
        .value_kind:     hidden_group_size_z
      - .offset:         42
        .size:           2
        .value_kind:     hidden_remainder_x
      - .offset:         44
        .size:           2
        .value_kind:     hidden_remainder_y
      - .offset:         46
        .size:           2
        .value_kind:     hidden_remainder_z
      - .offset:         64
        .size:           8
        .value_kind:     hidden_global_offset_x
      - .offset:         72
        .size:           8
        .value_kind:     hidden_global_offset_y
      - .offset:         80
        .size:           8
        .value_kind:     hidden_global_offset_z
      - .offset:         88
        .size:           2
        .value_kind:     hidden_grid_dims
    .group_segment_fixed_size: 0
    .kernarg_segment_align: 8
    .kernarg_segment_size: 280
    .language:       OpenCL C
    .language_version:
      - 2
      - 0
    .max_flat_workgroup_size: 1024
    .name:           _ZN9rocsolver6v33100L16reset_batch_infoIfiiPfEEvT2_lT0_T1_
    .private_segment_fixed_size: 0
    .sgpr_count:     18
    .sgpr_spill_count: 0
    .symbol:         _ZN9rocsolver6v33100L16reset_batch_infoIfiiPfEEvT2_lT0_T1_.kd
    .uniform_work_group_size: 1
    .uses_dynamic_stack: false
    .vgpr_count:     3
    .vgpr_spill_count: 0
    .wavefront_size: 64
  - .agpr_count:     0
    .args:
      - .offset:         0
        .size:           4
        .value_kind:     by_value
      - .offset:         4
        .size:           4
        .value_kind:     by_value
      - .address_space:  global
        .offset:         8
        .size:           8
        .value_kind:     global_buffer
      - .offset:         16
        .size:           4
        .value_kind:     by_value
      - .offset:         20
        .size:           4
        .value_kind:     by_value
      - .offset:         24
        .size:           8
        .value_kind:     by_value
      - .offset:         32
        .size:           4
        .value_kind:     hidden_block_count_x
      - .offset:         36
        .size:           4
        .value_kind:     hidden_block_count_y
      - .offset:         40
        .size:           4
        .value_kind:     hidden_block_count_z
      - .offset:         44
        .size:           2
        .value_kind:     hidden_group_size_x
      - .offset:         46
        .size:           2
        .value_kind:     hidden_group_size_y
      - .offset:         48
        .size:           2
        .value_kind:     hidden_group_size_z
      - .offset:         50
        .size:           2
        .value_kind:     hidden_remainder_x
      - .offset:         52
        .size:           2
        .value_kind:     hidden_remainder_y
      - .offset:         54
        .size:           2
        .value_kind:     hidden_remainder_z
      - .offset:         72
        .size:           8
        .value_kind:     hidden_global_offset_x
      - .offset:         80
        .size:           8
        .value_kind:     hidden_global_offset_y
      - .offset:         88
        .size:           8
        .value_kind:     hidden_global_offset_z
      - .offset:         96
        .size:           2
        .value_kind:     hidden_grid_dims
    .group_segment_fixed_size: 0
    .kernarg_segment_align: 8
    .kernarg_segment_size: 288
    .language:       OpenCL C
    .language_version:
      - 2
      - 0
    .max_flat_workgroup_size: 1024
    .name:           _ZN9rocsolver6v33100L10init_identIfPfEEviiT0_iil
    .private_segment_fixed_size: 0
    .sgpr_count:     16
    .sgpr_spill_count: 0
    .symbol:         _ZN9rocsolver6v33100L10init_identIfPfEEviiT0_iil.kd
    .uniform_work_group_size: 1
    .uses_dynamic_stack: false
    .vgpr_count:     4
    .vgpr_spill_count: 0
    .wavefront_size: 64
  - .agpr_count:     0
    .args:
      - .offset:         0
        .size:           4
        .value_kind:     by_value
      - .address_space:  global
        .offset:         8
        .size:           8
        .value_kind:     global_buffer
      - .offset:         16
        .size:           8
        .value_kind:     by_value
      - .address_space:  global
        .offset:         24
        .size:           8
        .value_kind:     global_buffer
      - .offset:         32
        .size:           8
        .value_kind:     by_value
      - .address_space:  global
        .offset:         40
        .size:           8
        .value_kind:     global_buffer
      - .address_space:  global
        .offset:         48
        .size:           8
        .value_kind:     global_buffer
      - .offset:         56
        .size:           4
        .value_kind:     by_value
      - .offset:         60
        .size:           4
        .value_kind:     by_value
      - .offset:         64
        .size:           4
        .value_kind:     by_value
      - .offset:         68
        .size:           4
        .value_kind:     by_value
    .group_segment_fixed_size: 0
    .kernarg_segment_align: 8
    .kernarg_segment_size: 72
    .language:       OpenCL C
    .language_version:
      - 2
      - 0
    .max_flat_workgroup_size: 1024
    .name:           _ZN9rocsolver6v33100L12sterf_kernelIfEEviPT_lS3_lPiS4_iS2_S2_S2_
    .private_segment_fixed_size: 0
    .sgpr_count:     80
    .sgpr_spill_count: 0
    .symbol:         _ZN9rocsolver6v33100L12sterf_kernelIfEEviPT_lS3_lPiS4_iS2_S2_S2_.kd
    .uniform_work_group_size: 1
    .uses_dynamic_stack: false
    .vgpr_count:     28
    .vgpr_spill_count: 0
    .wavefront_size: 64
  - .agpr_count:     0
    .args:
      - .offset:         0
        .size:           4
        .value_kind:     by_value
      - .offset:         4
        .size:           4
        .value_kind:     by_value
      - .offset:         8
        .size:           4
        .value_kind:     by_value
      - .offset:         12
        .size:           4
        .value_kind:     by_value
      - .offset:         16
        .size:           4
        .value_kind:     by_value
      - .address_space:  global
        .offset:         24
        .size:           8
        .value_kind:     global_buffer
      - .offset:         32
        .size:           8
        .value_kind:     by_value
      - .address_space:  global
        .offset:         40
        .size:           8
        .value_kind:     global_buffer
      - .offset:         48
        .size:           8
        .value_kind:     by_value
      - .address_space:  global
        .offset:         56
        .size:           8
        .value_kind:     global_buffer
      - .offset:         64
        .size:           8
        .value_kind:     by_value
      - .offset:         72
        .size:           4
        .value_kind:     by_value
      - .offset:         80
        .size:           8
        .value_kind:     by_value
      - .offset:         88
        .size:           4
        .value_kind:     by_value
      - .offset:         96
        .size:           4
        .value_kind:     hidden_block_count_x
      - .offset:         100
        .size:           4
        .value_kind:     hidden_block_count_y
      - .offset:         104
        .size:           4
        .value_kind:     hidden_block_count_z
      - .offset:         108
        .size:           2
        .value_kind:     hidden_group_size_x
      - .offset:         110
        .size:           2
        .value_kind:     hidden_group_size_y
      - .offset:         112
        .size:           2
        .value_kind:     hidden_group_size_z
      - .offset:         114
        .size:           2
        .value_kind:     hidden_remainder_x
      - .offset:         116
        .size:           2
        .value_kind:     hidden_remainder_y
      - .offset:         118
        .size:           2
        .value_kind:     hidden_remainder_z
      - .offset:         136
        .size:           8
        .value_kind:     hidden_global_offset_x
      - .offset:         144
        .size:           8
        .value_kind:     hidden_global_offset_y
      - .offset:         152
        .size:           8
        .value_kind:     hidden_global_offset_z
      - .offset:         160
        .size:           2
        .value_kind:     hidden_grid_dims
    .group_segment_fixed_size: 0
    .kernarg_segment_align: 8
    .kernarg_segment_size: 352
    .language:       OpenCL C
    .language_version:
      - 2
      - 0
    .max_flat_workgroup_size: 64
    .name:           _ZN9rocsolver6v33100L11lasr_kernelIffPfiEEv13rocblas_side_14rocblas_pivot_15rocblas_direct_T2_S6_PT0_lS8_lT1_lS6_lS6_
    .private_segment_fixed_size: 0
    .sgpr_count:     106
    .sgpr_spill_count: 8
    .symbol:         _ZN9rocsolver6v33100L11lasr_kernelIffPfiEEv13rocblas_side_14rocblas_pivot_15rocblas_direct_T2_S6_PT0_lS8_lT1_lS6_lS6_.kd
    .uniform_work_group_size: 1
    .uses_dynamic_stack: false
    .vgpr_count:     45
    .vgpr_spill_count: 0
    .wavefront_size: 64
  - .agpr_count:     0
    .args:
      - .offset:         0
        .size:           4
        .value_kind:     by_value
      - .address_space:  global
        .offset:         8
        .size:           8
        .value_kind:     global_buffer
      - .offset:         16
        .size:           4
        .value_kind:     by_value
      - .address_space:  global
        .offset:         24
        .size:           8
        .value_kind:     global_buffer
      - .offset:         32
        .size:           4
        .value_kind:     by_value
      - .offset:         40
        .size:           4
        .value_kind:     hidden_block_count_x
      - .offset:         44
        .size:           4
        .value_kind:     hidden_block_count_y
      - .offset:         48
        .size:           4
        .value_kind:     hidden_block_count_z
      - .offset:         52
        .size:           2
        .value_kind:     hidden_group_size_x
      - .offset:         54
        .size:           2
        .value_kind:     hidden_group_size_y
      - .offset:         56
        .size:           2
        .value_kind:     hidden_group_size_z
      - .offset:         58
        .size:           2
        .value_kind:     hidden_remainder_x
      - .offset:         60
        .size:           2
        .value_kind:     hidden_remainder_y
      - .offset:         62
        .size:           2
        .value_kind:     hidden_remainder_z
      - .offset:         80
        .size:           8
        .value_kind:     hidden_global_offset_x
      - .offset:         88
        .size:           8
        .value_kind:     hidden_global_offset_y
      - .offset:         96
        .size:           8
        .value_kind:     hidden_global_offset_z
      - .offset:         104
        .size:           2
        .value_kind:     hidden_grid_dims
    .group_segment_fixed_size: 0
    .kernarg_segment_align: 8
    .kernarg_segment_size: 296
    .language:       OpenCL C
    .language_version:
      - 2
      - 0
    .max_flat_workgroup_size: 1024
    .name:           _ZN9rocsolver6v33100L11swap_kernelIfiEEvT0_PT_S2_S4_S2_
    .private_segment_fixed_size: 0
    .sgpr_count:     23
    .sgpr_spill_count: 0
    .symbol:         _ZN9rocsolver6v33100L11swap_kernelIfiEEvT0_PT_S2_S4_S2_.kd
    .uniform_work_group_size: 1
    .uses_dynamic_stack: false
    .vgpr_count:     9
    .vgpr_spill_count: 0
    .wavefront_size: 64
  - .agpr_count:     0
    .args:
      - .offset:         0
        .size:           4
        .value_kind:     by_value
      - .address_space:  global
        .offset:         8
        .size:           8
        .value_kind:     global_buffer
      - .offset:         16
        .size:           8
        .value_kind:     by_value
      - .address_space:  global
        .offset:         24
        .size:           8
        .value_kind:     global_buffer
      - .offset:         32
        .size:           8
        .value_kind:     by_value
      - .address_space:  global
        .offset:         40
        .size:           8
        .value_kind:     global_buffer
      - .offset:         48
        .size:           4
        .value_kind:     by_value
      - .offset:         52
        .size:           4
        .value_kind:     by_value
      - .offset:         56
        .size:           8
        .value_kind:     by_value
      - .address_space:  global
        .offset:         64
        .size:           8
        .value_kind:     global_buffer
      - .address_space:  global
        .offset:         72
        .size:           8
        .value_kind:     global_buffer
      - .offset:         80
        .size:           4
        .value_kind:     by_value
      - .offset:         84
        .size:           4
        .value_kind:     by_value
      - .offset:         88
        .size:           4
        .value_kind:     by_value
      - .offset:         92
        .size:           4
        .value_kind:     by_value
      - .offset:         96
        .size:           4
        .value_kind:     hidden_block_count_x
      - .offset:         100
        .size:           4
        .value_kind:     hidden_block_count_y
      - .offset:         104
        .size:           4
        .value_kind:     hidden_block_count_z
      - .offset:         108
        .size:           2
        .value_kind:     hidden_group_size_x
      - .offset:         110
        .size:           2
        .value_kind:     hidden_group_size_y
      - .offset:         112
        .size:           2
        .value_kind:     hidden_group_size_z
      - .offset:         114
        .size:           2
        .value_kind:     hidden_remainder_x
      - .offset:         116
        .size:           2
        .value_kind:     hidden_remainder_y
      - .offset:         118
        .size:           2
        .value_kind:     hidden_remainder_z
      - .offset:         136
        .size:           8
        .value_kind:     hidden_global_offset_x
      - .offset:         144
        .size:           8
        .value_kind:     hidden_global_offset_y
      - .offset:         152
        .size:           8
        .value_kind:     hidden_global_offset_z
      - .offset:         160
        .size:           2
        .value_kind:     hidden_grid_dims
    .group_segment_fixed_size: 36
    .kernarg_segment_align: 8
    .kernarg_segment_size: 352
    .language:       OpenCL C
    .language_version:
      - 2
      - 0
    .max_flat_workgroup_size: 1024
    .name:           _ZN9rocsolver6v33100L12steqr_kernelIffPfEEviPT0_lS4_lT1_iilPiS4_iS3_S3_S3_
    .private_segment_fixed_size: 0
    .sgpr_count:     106
    .sgpr_spill_count: 0
    .symbol:         _ZN9rocsolver6v33100L12steqr_kernelIffPfEEviPT0_lS4_lT1_iilPiS4_iS3_S3_S3_.kd
    .uniform_work_group_size: 1
    .uses_dynamic_stack: false
    .vgpr_count:     64
    .vgpr_spill_count: 0
    .wavefront_size: 64
  - .agpr_count:     0
    .args:
      - .address_space:  global
        .offset:         0
        .size:           8
        .value_kind:     global_buffer
      - .offset:         8
        .size:           8
        .value_kind:     by_value
      - .offset:         16
        .size:           4
        .value_kind:     by_value
      - .offset:         20
        .size:           4
        .value_kind:     by_value
      - .offset:         24
        .size:           4
        .value_kind:     hidden_block_count_x
      - .offset:         28
        .size:           4
        .value_kind:     hidden_block_count_y
      - .offset:         32
        .size:           4
        .value_kind:     hidden_block_count_z
      - .offset:         36
        .size:           2
        .value_kind:     hidden_group_size_x
      - .offset:         38
        .size:           2
        .value_kind:     hidden_group_size_y
      - .offset:         40
        .size:           2
        .value_kind:     hidden_group_size_z
      - .offset:         42
        .size:           2
        .value_kind:     hidden_remainder_x
      - .offset:         44
        .size:           2
        .value_kind:     hidden_remainder_y
      - .offset:         46
        .size:           2
        .value_kind:     hidden_remainder_z
      - .offset:         64
        .size:           8
        .value_kind:     hidden_global_offset_x
      - .offset:         72
        .size:           8
        .value_kind:     hidden_global_offset_y
      - .offset:         80
        .size:           8
        .value_kind:     hidden_global_offset_z
      - .offset:         88
        .size:           2
        .value_kind:     hidden_grid_dims
    .group_segment_fixed_size: 0
    .kernarg_segment_align: 8
    .kernarg_segment_size: 280
    .language:       OpenCL C
    .language_version:
      - 2
      - 0
    .max_flat_workgroup_size: 1024
    .name:           _ZN9rocsolver6v33100L16reset_batch_infoIdiiPdEEvT2_lT0_T1_
    .private_segment_fixed_size: 0
    .sgpr_count:     18
    .sgpr_spill_count: 0
    .symbol:         _ZN9rocsolver6v33100L16reset_batch_infoIdiiPdEEvT2_lT0_T1_.kd
    .uniform_work_group_size: 1
    .uses_dynamic_stack: false
    .vgpr_count:     4
    .vgpr_spill_count: 0
    .wavefront_size: 64
  - .agpr_count:     0
    .args:
      - .offset:         0
        .size:           4
        .value_kind:     by_value
      - .offset:         4
        .size:           4
        .value_kind:     by_value
      - .address_space:  global
        .offset:         8
        .size:           8
        .value_kind:     global_buffer
      - .offset:         16
        .size:           4
        .value_kind:     by_value
      - .offset:         20
        .size:           4
        .value_kind:     by_value
      - .offset:         24
        .size:           8
        .value_kind:     by_value
      - .offset:         32
        .size:           4
        .value_kind:     hidden_block_count_x
      - .offset:         36
        .size:           4
        .value_kind:     hidden_block_count_y
      - .offset:         40
        .size:           4
        .value_kind:     hidden_block_count_z
      - .offset:         44
        .size:           2
        .value_kind:     hidden_group_size_x
      - .offset:         46
        .size:           2
        .value_kind:     hidden_group_size_y
      - .offset:         48
        .size:           2
        .value_kind:     hidden_group_size_z
      - .offset:         50
        .size:           2
        .value_kind:     hidden_remainder_x
      - .offset:         52
        .size:           2
        .value_kind:     hidden_remainder_y
      - .offset:         54
        .size:           2
        .value_kind:     hidden_remainder_z
      - .offset:         72
        .size:           8
        .value_kind:     hidden_global_offset_x
      - .offset:         80
        .size:           8
        .value_kind:     hidden_global_offset_y
      - .offset:         88
        .size:           8
        .value_kind:     hidden_global_offset_z
      - .offset:         96
        .size:           2
        .value_kind:     hidden_grid_dims
    .group_segment_fixed_size: 0
    .kernarg_segment_align: 8
    .kernarg_segment_size: 288
    .language:       OpenCL C
    .language_version:
      - 2
      - 0
    .max_flat_workgroup_size: 1024
    .name:           _ZN9rocsolver6v33100L10init_identIdPdEEviiT0_iil
    .private_segment_fixed_size: 0
    .sgpr_count:     16
    .sgpr_spill_count: 0
    .symbol:         _ZN9rocsolver6v33100L10init_identIdPdEEviiT0_iil.kd
    .uniform_work_group_size: 1
    .uses_dynamic_stack: false
    .vgpr_count:     6
    .vgpr_spill_count: 0
    .wavefront_size: 64
  - .agpr_count:     0
    .args:
      - .offset:         0
        .size:           4
        .value_kind:     by_value
      - .address_space:  global
        .offset:         8
        .size:           8
        .value_kind:     global_buffer
      - .offset:         16
        .size:           8
        .value_kind:     by_value
      - .address_space:  global
        .offset:         24
        .size:           8
        .value_kind:     global_buffer
      - .offset:         32
        .size:           8
        .value_kind:     by_value
      - .address_space:  global
        .offset:         40
        .size:           8
        .value_kind:     global_buffer
      - .address_space:  global
        .offset:         48
        .size:           8
        .value_kind:     global_buffer
      - .offset:         56
        .size:           4
        .value_kind:     by_value
      - .offset:         64
        .size:           8
        .value_kind:     by_value
      - .offset:         72
        .size:           8
        .value_kind:     by_value
      - .offset:         80
        .size:           8
        .value_kind:     by_value
    .group_segment_fixed_size: 0
    .kernarg_segment_align: 8
    .kernarg_segment_size: 88
    .language:       OpenCL C
    .language_version:
      - 2
      - 0
    .max_flat_workgroup_size: 1024
    .name:           _ZN9rocsolver6v33100L12sterf_kernelIdEEviPT_lS3_lPiS4_iS2_S2_S2_
    .private_segment_fixed_size: 0
    .sgpr_count:     80
    .sgpr_spill_count: 0
    .symbol:         _ZN9rocsolver6v33100L12sterf_kernelIdEEviPT_lS3_lPiS4_iS2_S2_S2_.kd
    .uniform_work_group_size: 1
    .uses_dynamic_stack: false
    .vgpr_count:     40
    .vgpr_spill_count: 0
    .wavefront_size: 64
  - .agpr_count:     0
    .args:
      - .offset:         0
        .size:           4
        .value_kind:     by_value
      - .offset:         4
        .size:           4
        .value_kind:     by_value
      - .offset:         8
        .size:           4
        .value_kind:     by_value
      - .offset:         12
        .size:           4
        .value_kind:     by_value
      - .offset:         16
        .size:           4
        .value_kind:     by_value
      - .address_space:  global
        .offset:         24
        .size:           8
        .value_kind:     global_buffer
      - .offset:         32
        .size:           8
        .value_kind:     by_value
      - .address_space:  global
        .offset:         40
        .size:           8
        .value_kind:     global_buffer
      - .offset:         48
        .size:           8
        .value_kind:     by_value
      - .address_space:  global
        .offset:         56
        .size:           8
        .value_kind:     global_buffer
      - .offset:         64
        .size:           8
        .value_kind:     by_value
      - .offset:         72
        .size:           4
        .value_kind:     by_value
      - .offset:         80
        .size:           8
        .value_kind:     by_value
      - .offset:         88
        .size:           4
        .value_kind:     by_value
      - .offset:         96
        .size:           4
        .value_kind:     hidden_block_count_x
      - .offset:         100
        .size:           4
        .value_kind:     hidden_block_count_y
      - .offset:         104
        .size:           4
        .value_kind:     hidden_block_count_z
      - .offset:         108
        .size:           2
        .value_kind:     hidden_group_size_x
      - .offset:         110
        .size:           2
        .value_kind:     hidden_group_size_y
      - .offset:         112
        .size:           2
        .value_kind:     hidden_group_size_z
      - .offset:         114
        .size:           2
        .value_kind:     hidden_remainder_x
      - .offset:         116
        .size:           2
        .value_kind:     hidden_remainder_y
      - .offset:         118
        .size:           2
        .value_kind:     hidden_remainder_z
      - .offset:         136
        .size:           8
        .value_kind:     hidden_global_offset_x
      - .offset:         144
        .size:           8
        .value_kind:     hidden_global_offset_y
      - .offset:         152
        .size:           8
        .value_kind:     hidden_global_offset_z
      - .offset:         160
        .size:           2
        .value_kind:     hidden_grid_dims
    .group_segment_fixed_size: 0
    .kernarg_segment_align: 8
    .kernarg_segment_size: 352
    .language:       OpenCL C
    .language_version:
      - 2
      - 0
    .max_flat_workgroup_size: 64
    .name:           _ZN9rocsolver6v33100L11lasr_kernelIddPdiEEv13rocblas_side_14rocblas_pivot_15rocblas_direct_T2_S6_PT0_lS8_lT1_lS6_lS6_
    .private_segment_fixed_size: 0
    .sgpr_count:     106
    .sgpr_spill_count: 8
    .symbol:         _ZN9rocsolver6v33100L11lasr_kernelIddPdiEEv13rocblas_side_14rocblas_pivot_15rocblas_direct_T2_S6_PT0_lS8_lT1_lS6_lS6_.kd
    .uniform_work_group_size: 1
    .uses_dynamic_stack: false
    .vgpr_count:     49
    .vgpr_spill_count: 0
    .wavefront_size: 64
  - .agpr_count:     0
    .args:
      - .offset:         0
        .size:           4
        .value_kind:     by_value
      - .address_space:  global
        .offset:         8
        .size:           8
        .value_kind:     global_buffer
      - .offset:         16
        .size:           4
        .value_kind:     by_value
      - .address_space:  global
        .offset:         24
        .size:           8
        .value_kind:     global_buffer
      - .offset:         32
        .size:           4
        .value_kind:     by_value
      - .offset:         40
        .size:           4
        .value_kind:     hidden_block_count_x
      - .offset:         44
        .size:           4
        .value_kind:     hidden_block_count_y
      - .offset:         48
        .size:           4
        .value_kind:     hidden_block_count_z
      - .offset:         52
        .size:           2
        .value_kind:     hidden_group_size_x
      - .offset:         54
        .size:           2
        .value_kind:     hidden_group_size_y
      - .offset:         56
        .size:           2
        .value_kind:     hidden_group_size_z
      - .offset:         58
        .size:           2
        .value_kind:     hidden_remainder_x
      - .offset:         60
        .size:           2
        .value_kind:     hidden_remainder_y
      - .offset:         62
        .size:           2
        .value_kind:     hidden_remainder_z
      - .offset:         80
        .size:           8
        .value_kind:     hidden_global_offset_x
      - .offset:         88
        .size:           8
        .value_kind:     hidden_global_offset_y
      - .offset:         96
        .size:           8
        .value_kind:     hidden_global_offset_z
      - .offset:         104
        .size:           2
        .value_kind:     hidden_grid_dims
    .group_segment_fixed_size: 0
    .kernarg_segment_align: 8
    .kernarg_segment_size: 296
    .language:       OpenCL C
    .language_version:
      - 2
      - 0
    .max_flat_workgroup_size: 1024
    .name:           _ZN9rocsolver6v33100L11swap_kernelIdiEEvT0_PT_S2_S4_S2_
    .private_segment_fixed_size: 0
    .sgpr_count:     23
    .sgpr_spill_count: 0
    .symbol:         _ZN9rocsolver6v33100L11swap_kernelIdiEEvT0_PT_S2_S4_S2_.kd
    .uniform_work_group_size: 1
    .uses_dynamic_stack: false
    .vgpr_count:     12
    .vgpr_spill_count: 0
    .wavefront_size: 64
  - .agpr_count:     0
    .args:
      - .offset:         0
        .size:           4
        .value_kind:     by_value
      - .address_space:  global
        .offset:         8
        .size:           8
        .value_kind:     global_buffer
      - .offset:         16
        .size:           8
        .value_kind:     by_value
      - .address_space:  global
        .offset:         24
        .size:           8
        .value_kind:     global_buffer
      - .offset:         32
        .size:           8
        .value_kind:     by_value
      - .address_space:  global
        .offset:         40
        .size:           8
        .value_kind:     global_buffer
      - .offset:         48
        .size:           4
        .value_kind:     by_value
      - .offset:         52
        .size:           4
        .value_kind:     by_value
      - .offset:         56
        .size:           8
        .value_kind:     by_value
      - .address_space:  global
        .offset:         64
        .size:           8
        .value_kind:     global_buffer
      - .address_space:  global
        .offset:         72
        .size:           8
        .value_kind:     global_buffer
      - .offset:         80
        .size:           4
        .value_kind:     by_value
      - .offset:         88
        .size:           8
        .value_kind:     by_value
      - .offset:         96
        .size:           8
        .value_kind:     by_value
      - .offset:         104
        .size:           8
        .value_kind:     by_value
      - .offset:         112
        .size:           4
        .value_kind:     hidden_block_count_x
      - .offset:         116
        .size:           4
        .value_kind:     hidden_block_count_y
      - .offset:         120
        .size:           4
        .value_kind:     hidden_block_count_z
      - .offset:         124
        .size:           2
        .value_kind:     hidden_group_size_x
      - .offset:         126
        .size:           2
        .value_kind:     hidden_group_size_y
      - .offset:         128
        .size:           2
        .value_kind:     hidden_group_size_z
      - .offset:         130
        .size:           2
        .value_kind:     hidden_remainder_x
      - .offset:         132
        .size:           2
        .value_kind:     hidden_remainder_y
      - .offset:         134
        .size:           2
        .value_kind:     hidden_remainder_z
      - .offset:         152
        .size:           8
        .value_kind:     hidden_global_offset_x
      - .offset:         160
        .size:           8
        .value_kind:     hidden_global_offset_y
      - .offset:         168
        .size:           8
        .value_kind:     hidden_global_offset_z
      - .offset:         176
        .size:           2
        .value_kind:     hidden_grid_dims
    .group_segment_fixed_size: 48
    .kernarg_segment_align: 8
    .kernarg_segment_size: 368
    .language:       OpenCL C
    .language_version:
      - 2
      - 0
    .max_flat_workgroup_size: 1024
    .name:           _ZN9rocsolver6v33100L12steqr_kernelIddPdEEviPT0_lS4_lT1_iilPiS4_iS3_S3_S3_
    .private_segment_fixed_size: 0
    .sgpr_count:     106
    .sgpr_spill_count: 2
    .symbol:         _ZN9rocsolver6v33100L12steqr_kernelIddPdEEviPT0_lS4_lT1_iilPiS4_iS3_S3_S3_.kd
    .uniform_work_group_size: 1
    .uses_dynamic_stack: false
    .vgpr_count:     70
    .vgpr_spill_count: 0
    .wavefront_size: 64
  - .agpr_count:     0
    .args:
      - .address_space:  global
        .offset:         0
        .size:           8
        .value_kind:     global_buffer
      - .offset:         8
        .size:           8
        .value_kind:     by_value
      - .offset:         16
        .size:           4
        .value_kind:     by_value
      - .offset:         20
        .size:           4
        .value_kind:     by_value
      - .offset:         24
        .size:           4
        .value_kind:     hidden_block_count_x
      - .offset:         28
        .size:           4
        .value_kind:     hidden_block_count_y
      - .offset:         32
        .size:           4
        .value_kind:     hidden_block_count_z
      - .offset:         36
        .size:           2
        .value_kind:     hidden_group_size_x
      - .offset:         38
        .size:           2
        .value_kind:     hidden_group_size_y
      - .offset:         40
        .size:           2
        .value_kind:     hidden_group_size_z
      - .offset:         42
        .size:           2
        .value_kind:     hidden_remainder_x
      - .offset:         44
        .size:           2
        .value_kind:     hidden_remainder_y
      - .offset:         46
        .size:           2
        .value_kind:     hidden_remainder_z
      - .offset:         64
        .size:           8
        .value_kind:     hidden_global_offset_x
      - .offset:         72
        .size:           8
        .value_kind:     hidden_global_offset_y
      - .offset:         80
        .size:           8
        .value_kind:     hidden_global_offset_z
      - .offset:         88
        .size:           2
        .value_kind:     hidden_grid_dims
    .group_segment_fixed_size: 0
    .kernarg_segment_align: 8
    .kernarg_segment_size: 280
    .language:       OpenCL C
    .language_version:
      - 2
      - 0
    .max_flat_workgroup_size: 1024
    .name:           _ZN9rocsolver6v33100L16reset_batch_infoI19rocblas_complex_numIfEiiPS3_EEvT2_lT0_T1_
    .private_segment_fixed_size: 0
    .sgpr_count:     18
    .sgpr_spill_count: 0
    .symbol:         _ZN9rocsolver6v33100L16reset_batch_infoI19rocblas_complex_numIfEiiPS3_EEvT2_lT0_T1_.kd
    .uniform_work_group_size: 1
    .uses_dynamic_stack: false
    .vgpr_count:     4
    .vgpr_spill_count: 0
    .wavefront_size: 64
  - .agpr_count:     0
    .args:
      - .offset:         0
        .size:           4
        .value_kind:     by_value
      - .offset:         4
        .size:           4
        .value_kind:     by_value
      - .address_space:  global
        .offset:         8
        .size:           8
        .value_kind:     global_buffer
      - .offset:         16
        .size:           4
        .value_kind:     by_value
      - .offset:         20
        .size:           4
        .value_kind:     by_value
      - .offset:         24
        .size:           8
        .value_kind:     by_value
      - .offset:         32
        .size:           4
        .value_kind:     hidden_block_count_x
      - .offset:         36
        .size:           4
        .value_kind:     hidden_block_count_y
      - .offset:         40
        .size:           4
        .value_kind:     hidden_block_count_z
      - .offset:         44
        .size:           2
        .value_kind:     hidden_group_size_x
      - .offset:         46
        .size:           2
        .value_kind:     hidden_group_size_y
      - .offset:         48
        .size:           2
        .value_kind:     hidden_group_size_z
      - .offset:         50
        .size:           2
        .value_kind:     hidden_remainder_x
      - .offset:         52
        .size:           2
        .value_kind:     hidden_remainder_y
      - .offset:         54
        .size:           2
        .value_kind:     hidden_remainder_z
      - .offset:         72
        .size:           8
        .value_kind:     hidden_global_offset_x
      - .offset:         80
        .size:           8
        .value_kind:     hidden_global_offset_y
      - .offset:         88
        .size:           8
        .value_kind:     hidden_global_offset_z
      - .offset:         96
        .size:           2
        .value_kind:     hidden_grid_dims
    .group_segment_fixed_size: 0
    .kernarg_segment_align: 8
    .kernarg_segment_size: 288
    .language:       OpenCL C
    .language_version:
      - 2
      - 0
    .max_flat_workgroup_size: 1024
    .name:           _ZN9rocsolver6v33100L10init_identI19rocblas_complex_numIfEPS3_EEviiT0_iil
    .private_segment_fixed_size: 0
    .sgpr_count:     16
    .sgpr_spill_count: 0
    .symbol:         _ZN9rocsolver6v33100L10init_identI19rocblas_complex_numIfEPS3_EEviiT0_iil.kd
    .uniform_work_group_size: 1
    .uses_dynamic_stack: false
    .vgpr_count:     6
    .vgpr_spill_count: 0
    .wavefront_size: 64
  - .agpr_count:     0
    .args:
      - .offset:         0
        .size:           4
        .value_kind:     by_value
      - .offset:         4
        .size:           4
        .value_kind:     by_value
      - .offset:         8
        .size:           4
        .value_kind:     by_value
      - .offset:         12
        .size:           4
        .value_kind:     by_value
      - .offset:         16
        .size:           4
        .value_kind:     by_value
      - .address_space:  global
        .offset:         24
        .size:           8
        .value_kind:     global_buffer
      - .offset:         32
        .size:           8
        .value_kind:     by_value
      - .address_space:  global
        .offset:         40
        .size:           8
        .value_kind:     global_buffer
      - .offset:         48
        .size:           8
        .value_kind:     by_value
      - .address_space:  global
        .offset:         56
        .size:           8
        .value_kind:     global_buffer
      - .offset:         64
        .size:           8
        .value_kind:     by_value
      - .offset:         72
        .size:           4
        .value_kind:     by_value
      - .offset:         80
        .size:           8
        .value_kind:     by_value
      - .offset:         88
        .size:           4
        .value_kind:     by_value
      - .offset:         96
        .size:           4
        .value_kind:     hidden_block_count_x
      - .offset:         100
        .size:           4
        .value_kind:     hidden_block_count_y
      - .offset:         104
        .size:           4
        .value_kind:     hidden_block_count_z
      - .offset:         108
        .size:           2
        .value_kind:     hidden_group_size_x
      - .offset:         110
        .size:           2
        .value_kind:     hidden_group_size_y
      - .offset:         112
        .size:           2
        .value_kind:     hidden_group_size_z
      - .offset:         114
        .size:           2
        .value_kind:     hidden_remainder_x
      - .offset:         116
        .size:           2
        .value_kind:     hidden_remainder_y
      - .offset:         118
        .size:           2
        .value_kind:     hidden_remainder_z
      - .offset:         136
        .size:           8
        .value_kind:     hidden_global_offset_x
      - .offset:         144
        .size:           8
        .value_kind:     hidden_global_offset_y
      - .offset:         152
        .size:           8
        .value_kind:     hidden_global_offset_z
      - .offset:         160
        .size:           2
        .value_kind:     hidden_grid_dims
    .group_segment_fixed_size: 0
    .kernarg_segment_align: 8
    .kernarg_segment_size: 352
    .language:       OpenCL C
    .language_version:
      - 2
      - 0
    .max_flat_workgroup_size: 64
    .name:           _ZN9rocsolver6v33100L11lasr_kernelI19rocblas_complex_numIfEfPS3_iEEv13rocblas_side_14rocblas_pivot_15rocblas_direct_T2_S8_PT0_lSA_lT1_lS8_lS8_
    .private_segment_fixed_size: 0
    .sgpr_count:     106
    .sgpr_spill_count: 8
    .symbol:         _ZN9rocsolver6v33100L11lasr_kernelI19rocblas_complex_numIfEfPS3_iEEv13rocblas_side_14rocblas_pivot_15rocblas_direct_T2_S8_PT0_lSA_lT1_lS8_lS8_.kd
    .uniform_work_group_size: 1
    .uses_dynamic_stack: false
    .vgpr_count:     47
    .vgpr_spill_count: 0
    .wavefront_size: 64
  - .agpr_count:     0
    .args:
      - .offset:         0
        .size:           4
        .value_kind:     by_value
      - .address_space:  global
        .offset:         8
        .size:           8
        .value_kind:     global_buffer
      - .offset:         16
        .size:           4
        .value_kind:     by_value
      - .address_space:  global
        .offset:         24
        .size:           8
        .value_kind:     global_buffer
      - .offset:         32
        .size:           4
        .value_kind:     by_value
      - .offset:         40
        .size:           4
        .value_kind:     hidden_block_count_x
      - .offset:         44
        .size:           4
        .value_kind:     hidden_block_count_y
      - .offset:         48
        .size:           4
        .value_kind:     hidden_block_count_z
      - .offset:         52
        .size:           2
        .value_kind:     hidden_group_size_x
      - .offset:         54
        .size:           2
        .value_kind:     hidden_group_size_y
      - .offset:         56
        .size:           2
        .value_kind:     hidden_group_size_z
      - .offset:         58
        .size:           2
        .value_kind:     hidden_remainder_x
      - .offset:         60
        .size:           2
        .value_kind:     hidden_remainder_y
      - .offset:         62
        .size:           2
        .value_kind:     hidden_remainder_z
      - .offset:         80
        .size:           8
        .value_kind:     hidden_global_offset_x
      - .offset:         88
        .size:           8
        .value_kind:     hidden_global_offset_y
      - .offset:         96
        .size:           8
        .value_kind:     hidden_global_offset_z
      - .offset:         104
        .size:           2
        .value_kind:     hidden_grid_dims
    .group_segment_fixed_size: 0
    .kernarg_segment_align: 8
    .kernarg_segment_size: 296
    .language:       OpenCL C
    .language_version:
      - 2
      - 0
    .max_flat_workgroup_size: 1024
    .name:           _ZN9rocsolver6v33100L11swap_kernelI19rocblas_complex_numIfEiEEvT0_PT_S4_S6_S4_
    .private_segment_fixed_size: 0
    .sgpr_count:     23
    .sgpr_spill_count: 0
    .symbol:         _ZN9rocsolver6v33100L11swap_kernelI19rocblas_complex_numIfEiEEvT0_PT_S4_S6_S4_.kd
    .uniform_work_group_size: 1
    .uses_dynamic_stack: false
    .vgpr_count:     12
    .vgpr_spill_count: 0
    .wavefront_size: 64
  - .agpr_count:     0
    .args:
      - .offset:         0
        .size:           4
        .value_kind:     by_value
      - .address_space:  global
        .offset:         8
        .size:           8
        .value_kind:     global_buffer
      - .offset:         16
        .size:           8
        .value_kind:     by_value
      - .address_space:  global
        .offset:         24
        .size:           8
        .value_kind:     global_buffer
      - .offset:         32
        .size:           8
        .value_kind:     by_value
      - .address_space:  global
        .offset:         40
        .size:           8
        .value_kind:     global_buffer
      - .offset:         48
        .size:           4
        .value_kind:     by_value
      - .offset:         52
        .size:           4
        .value_kind:     by_value
      - .offset:         56
        .size:           8
        .value_kind:     by_value
      - .address_space:  global
        .offset:         64
        .size:           8
        .value_kind:     global_buffer
      - .address_space:  global
        .offset:         72
        .size:           8
        .value_kind:     global_buffer
      - .offset:         80
        .size:           4
        .value_kind:     by_value
      - .offset:         84
        .size:           4
        .value_kind:     by_value
      - .offset:         88
        .size:           4
        .value_kind:     by_value
      - .offset:         92
        .size:           4
        .value_kind:     by_value
      - .offset:         96
        .size:           4
        .value_kind:     hidden_block_count_x
      - .offset:         100
        .size:           4
        .value_kind:     hidden_block_count_y
      - .offset:         104
        .size:           4
        .value_kind:     hidden_block_count_z
      - .offset:         108
        .size:           2
        .value_kind:     hidden_group_size_x
      - .offset:         110
        .size:           2
        .value_kind:     hidden_group_size_y
      - .offset:         112
        .size:           2
        .value_kind:     hidden_group_size_z
      - .offset:         114
        .size:           2
        .value_kind:     hidden_remainder_x
      - .offset:         116
        .size:           2
        .value_kind:     hidden_remainder_y
      - .offset:         118
        .size:           2
        .value_kind:     hidden_remainder_z
      - .offset:         136
        .size:           8
        .value_kind:     hidden_global_offset_x
      - .offset:         144
        .size:           8
        .value_kind:     hidden_global_offset_y
      - .offset:         152
        .size:           8
        .value_kind:     hidden_global_offset_z
      - .offset:         160
        .size:           2
        .value_kind:     hidden_grid_dims
    .group_segment_fixed_size: 36
    .kernarg_segment_align: 8
    .kernarg_segment_size: 352
    .language:       OpenCL C
    .language_version:
      - 2
      - 0
    .max_flat_workgroup_size: 1024
    .name:           _ZN9rocsolver6v33100L12steqr_kernelI19rocblas_complex_numIfEfPS3_EEviPT0_lS6_lT1_iilPiS6_iS5_S5_S5_
    .private_segment_fixed_size: 0
    .sgpr_count:     106
    .sgpr_spill_count: 0
    .symbol:         _ZN9rocsolver6v33100L12steqr_kernelI19rocblas_complex_numIfEfPS3_EEviPT0_lS6_lT1_iilPiS6_iS5_S5_S5_.kd
    .uniform_work_group_size: 1
    .uses_dynamic_stack: false
    .vgpr_count:     64
    .vgpr_spill_count: 0
    .wavefront_size: 64
  - .agpr_count:     0
    .args:
      - .address_space:  global
        .offset:         0
        .size:           8
        .value_kind:     global_buffer
      - .offset:         8
        .size:           8
        .value_kind:     by_value
      - .offset:         16
        .size:           4
        .value_kind:     by_value
      - .offset:         20
        .size:           4
        .value_kind:     by_value
      - .offset:         24
        .size:           4
        .value_kind:     hidden_block_count_x
      - .offset:         28
        .size:           4
        .value_kind:     hidden_block_count_y
      - .offset:         32
        .size:           4
        .value_kind:     hidden_block_count_z
      - .offset:         36
        .size:           2
        .value_kind:     hidden_group_size_x
      - .offset:         38
        .size:           2
        .value_kind:     hidden_group_size_y
      - .offset:         40
        .size:           2
        .value_kind:     hidden_group_size_z
      - .offset:         42
        .size:           2
        .value_kind:     hidden_remainder_x
      - .offset:         44
        .size:           2
        .value_kind:     hidden_remainder_y
      - .offset:         46
        .size:           2
        .value_kind:     hidden_remainder_z
      - .offset:         64
        .size:           8
        .value_kind:     hidden_global_offset_x
      - .offset:         72
        .size:           8
        .value_kind:     hidden_global_offset_y
      - .offset:         80
        .size:           8
        .value_kind:     hidden_global_offset_z
      - .offset:         88
        .size:           2
        .value_kind:     hidden_grid_dims
    .group_segment_fixed_size: 0
    .kernarg_segment_align: 8
    .kernarg_segment_size: 280
    .language:       OpenCL C
    .language_version:
      - 2
      - 0
    .max_flat_workgroup_size: 1024
    .name:           _ZN9rocsolver6v33100L16reset_batch_infoI19rocblas_complex_numIdEiiPS3_EEvT2_lT0_T1_
    .private_segment_fixed_size: 0
    .sgpr_count:     18
    .sgpr_spill_count: 0
    .symbol:         _ZN9rocsolver6v33100L16reset_batch_infoI19rocblas_complex_numIdEiiPS3_EEvT2_lT0_T1_.kd
    .uniform_work_group_size: 1
    .uses_dynamic_stack: false
    .vgpr_count:     6
    .vgpr_spill_count: 0
    .wavefront_size: 64
  - .agpr_count:     0
    .args:
      - .offset:         0
        .size:           4
        .value_kind:     by_value
      - .offset:         4
        .size:           4
        .value_kind:     by_value
      - .address_space:  global
        .offset:         8
        .size:           8
        .value_kind:     global_buffer
      - .offset:         16
        .size:           4
        .value_kind:     by_value
      - .offset:         20
        .size:           4
        .value_kind:     by_value
      - .offset:         24
        .size:           8
        .value_kind:     by_value
      - .offset:         32
        .size:           4
        .value_kind:     hidden_block_count_x
      - .offset:         36
        .size:           4
        .value_kind:     hidden_block_count_y
      - .offset:         40
        .size:           4
        .value_kind:     hidden_block_count_z
      - .offset:         44
        .size:           2
        .value_kind:     hidden_group_size_x
      - .offset:         46
        .size:           2
        .value_kind:     hidden_group_size_y
      - .offset:         48
        .size:           2
        .value_kind:     hidden_group_size_z
      - .offset:         50
        .size:           2
        .value_kind:     hidden_remainder_x
      - .offset:         52
        .size:           2
        .value_kind:     hidden_remainder_y
      - .offset:         54
        .size:           2
        .value_kind:     hidden_remainder_z
      - .offset:         72
        .size:           8
        .value_kind:     hidden_global_offset_x
      - .offset:         80
        .size:           8
        .value_kind:     hidden_global_offset_y
      - .offset:         88
        .size:           8
        .value_kind:     hidden_global_offset_z
      - .offset:         96
        .size:           2
        .value_kind:     hidden_grid_dims
    .group_segment_fixed_size: 0
    .kernarg_segment_align: 8
    .kernarg_segment_size: 288
    .language:       OpenCL C
    .language_version:
      - 2
      - 0
    .max_flat_workgroup_size: 1024
    .name:           _ZN9rocsolver6v33100L10init_identI19rocblas_complex_numIdEPS3_EEviiT0_iil
    .private_segment_fixed_size: 0
    .sgpr_count:     16
    .sgpr_spill_count: 0
    .symbol:         _ZN9rocsolver6v33100L10init_identI19rocblas_complex_numIdEPS3_EEviiT0_iil.kd
    .uniform_work_group_size: 1
    .uses_dynamic_stack: false
    .vgpr_count:     6
    .vgpr_spill_count: 0
    .wavefront_size: 64
  - .agpr_count:     0
    .args:
      - .offset:         0
        .size:           4
        .value_kind:     by_value
      - .offset:         4
        .size:           4
        .value_kind:     by_value
      - .offset:         8
        .size:           4
        .value_kind:     by_value
      - .offset:         12
        .size:           4
        .value_kind:     by_value
      - .offset:         16
        .size:           4
        .value_kind:     by_value
      - .address_space:  global
        .offset:         24
        .size:           8
        .value_kind:     global_buffer
      - .offset:         32
        .size:           8
        .value_kind:     by_value
      - .address_space:  global
        .offset:         40
        .size:           8
        .value_kind:     global_buffer
      - .offset:         48
        .size:           8
        .value_kind:     by_value
      - .address_space:  global
        .offset:         56
        .size:           8
        .value_kind:     global_buffer
      - .offset:         64
        .size:           8
        .value_kind:     by_value
      - .offset:         72
        .size:           4
        .value_kind:     by_value
      - .offset:         80
        .size:           8
        .value_kind:     by_value
      - .offset:         88
        .size:           4
        .value_kind:     by_value
      - .offset:         96
        .size:           4
        .value_kind:     hidden_block_count_x
      - .offset:         100
        .size:           4
        .value_kind:     hidden_block_count_y
      - .offset:         104
        .size:           4
        .value_kind:     hidden_block_count_z
      - .offset:         108
        .size:           2
        .value_kind:     hidden_group_size_x
      - .offset:         110
        .size:           2
        .value_kind:     hidden_group_size_y
      - .offset:         112
        .size:           2
        .value_kind:     hidden_group_size_z
      - .offset:         114
        .size:           2
        .value_kind:     hidden_remainder_x
      - .offset:         116
        .size:           2
        .value_kind:     hidden_remainder_y
      - .offset:         118
        .size:           2
        .value_kind:     hidden_remainder_z
      - .offset:         136
        .size:           8
        .value_kind:     hidden_global_offset_x
      - .offset:         144
        .size:           8
        .value_kind:     hidden_global_offset_y
      - .offset:         152
        .size:           8
        .value_kind:     hidden_global_offset_z
      - .offset:         160
        .size:           2
        .value_kind:     hidden_grid_dims
    .group_segment_fixed_size: 0
    .kernarg_segment_align: 8
    .kernarg_segment_size: 352
    .language:       OpenCL C
    .language_version:
      - 2
      - 0
    .max_flat_workgroup_size: 64
    .name:           _ZN9rocsolver6v33100L11lasr_kernelI19rocblas_complex_numIdEdPS3_iEEv13rocblas_side_14rocblas_pivot_15rocblas_direct_T2_S8_PT0_lSA_lT1_lS8_lS8_
    .private_segment_fixed_size: 0
    .sgpr_count:     106
    .sgpr_spill_count: 8
    .symbol:         _ZN9rocsolver6v33100L11lasr_kernelI19rocblas_complex_numIdEdPS3_iEEv13rocblas_side_14rocblas_pivot_15rocblas_direct_T2_S8_PT0_lSA_lT1_lS8_lS8_.kd
    .uniform_work_group_size: 1
    .uses_dynamic_stack: false
    .vgpr_count:     57
    .vgpr_spill_count: 0
    .wavefront_size: 64
  - .agpr_count:     0
    .args:
      - .offset:         0
        .size:           4
        .value_kind:     by_value
      - .address_space:  global
        .offset:         8
        .size:           8
        .value_kind:     global_buffer
      - .offset:         16
        .size:           4
        .value_kind:     by_value
      - .address_space:  global
        .offset:         24
        .size:           8
        .value_kind:     global_buffer
      - .offset:         32
        .size:           4
        .value_kind:     by_value
      - .offset:         40
        .size:           4
        .value_kind:     hidden_block_count_x
      - .offset:         44
        .size:           4
        .value_kind:     hidden_block_count_y
      - .offset:         48
        .size:           4
        .value_kind:     hidden_block_count_z
      - .offset:         52
        .size:           2
        .value_kind:     hidden_group_size_x
      - .offset:         54
        .size:           2
        .value_kind:     hidden_group_size_y
      - .offset:         56
        .size:           2
        .value_kind:     hidden_group_size_z
      - .offset:         58
        .size:           2
        .value_kind:     hidden_remainder_x
      - .offset:         60
        .size:           2
        .value_kind:     hidden_remainder_y
      - .offset:         62
        .size:           2
        .value_kind:     hidden_remainder_z
      - .offset:         80
        .size:           8
        .value_kind:     hidden_global_offset_x
      - .offset:         88
        .size:           8
        .value_kind:     hidden_global_offset_y
      - .offset:         96
        .size:           8
        .value_kind:     hidden_global_offset_z
      - .offset:         104
        .size:           2
        .value_kind:     hidden_grid_dims
    .group_segment_fixed_size: 32768
    .kernarg_segment_align: 8
    .kernarg_segment_size: 296
    .language:       OpenCL C
    .language_version:
      - 2
      - 0
    .max_flat_workgroup_size: 1024
    .name:           _ZN9rocsolver6v33100L11swap_kernelI19rocblas_complex_numIdEiEEvT0_PT_S4_S6_S4_
    .private_segment_fixed_size: 0
    .sgpr_count:     23
    .sgpr_spill_count: 0
    .symbol:         _ZN9rocsolver6v33100L11swap_kernelI19rocblas_complex_numIdEiEEvT0_PT_S4_S6_S4_.kd
    .uniform_work_group_size: 1
    .uses_dynamic_stack: false
    .vgpr_count:     18
    .vgpr_spill_count: 0
    .wavefront_size: 64
  - .agpr_count:     0
    .args:
      - .offset:         0
        .size:           4
        .value_kind:     by_value
      - .address_space:  global
        .offset:         8
        .size:           8
        .value_kind:     global_buffer
      - .offset:         16
        .size:           8
        .value_kind:     by_value
      - .address_space:  global
        .offset:         24
        .size:           8
        .value_kind:     global_buffer
      - .offset:         32
        .size:           8
        .value_kind:     by_value
      - .address_space:  global
        .offset:         40
        .size:           8
        .value_kind:     global_buffer
      - .offset:         48
        .size:           4
        .value_kind:     by_value
      - .offset:         52
        .size:           4
        .value_kind:     by_value
      - .offset:         56
        .size:           8
        .value_kind:     by_value
      - .address_space:  global
        .offset:         64
        .size:           8
        .value_kind:     global_buffer
      - .address_space:  global
        .offset:         72
        .size:           8
        .value_kind:     global_buffer
      - .offset:         80
        .size:           4
        .value_kind:     by_value
      - .offset:         88
        .size:           8
        .value_kind:     by_value
      - .offset:         96
        .size:           8
        .value_kind:     by_value
      - .offset:         104
        .size:           8
        .value_kind:     by_value
      - .offset:         112
        .size:           4
        .value_kind:     hidden_block_count_x
      - .offset:         116
        .size:           4
        .value_kind:     hidden_block_count_y
      - .offset:         120
        .size:           4
        .value_kind:     hidden_block_count_z
      - .offset:         124
        .size:           2
        .value_kind:     hidden_group_size_x
      - .offset:         126
        .size:           2
        .value_kind:     hidden_group_size_y
      - .offset:         128
        .size:           2
        .value_kind:     hidden_group_size_z
      - .offset:         130
        .size:           2
        .value_kind:     hidden_remainder_x
      - .offset:         132
        .size:           2
        .value_kind:     hidden_remainder_y
      - .offset:         134
        .size:           2
        .value_kind:     hidden_remainder_z
      - .offset:         152
        .size:           8
        .value_kind:     hidden_global_offset_x
      - .offset:         160
        .size:           8
        .value_kind:     hidden_global_offset_y
      - .offset:         168
        .size:           8
        .value_kind:     hidden_global_offset_z
      - .offset:         176
        .size:           2
        .value_kind:     hidden_grid_dims
    .group_segment_fixed_size: 16432
    .kernarg_segment_align: 8
    .kernarg_segment_size: 368
    .language:       OpenCL C
    .language_version:
      - 2
      - 0
    .max_flat_workgroup_size: 1024
    .name:           _ZN9rocsolver6v33100L12steqr_kernelI19rocblas_complex_numIdEdPS3_EEviPT0_lS6_lT1_iilPiS6_iS5_S5_S5_
    .private_segment_fixed_size: 0
    .sgpr_count:     106
    .sgpr_spill_count: 6
    .symbol:         _ZN9rocsolver6v33100L12steqr_kernelI19rocblas_complex_numIdEdPS3_EEviPT0_lS6_lT1_iilPiS6_iS5_S5_S5_.kd
    .uniform_work_group_size: 1
    .uses_dynamic_stack: false
    .vgpr_count:     72
    .vgpr_spill_count: 0
    .wavefront_size: 64
amdhsa.target:   amdgcn-amd-amdhsa--gfx950
amdhsa.version:
  - 1
  - 2
...

	.end_amdgpu_metadata
